;; amdgpu-corpus repo=ROCm/rocFFT kind=compiled arch=gfx906 opt=O3
	.text
	.amdgcn_target "amdgcn-amd-amdhsa--gfx906"
	.amdhsa_code_object_version 6
	.protected	fft_rtc_fwd_len2700_factors_3_10_10_3_3_wgs_90_tpt_90_halfLds_dp_op_CI_CI_unitstride_sbrr_C2R_dirReg ; -- Begin function fft_rtc_fwd_len2700_factors_3_10_10_3_3_wgs_90_tpt_90_halfLds_dp_op_CI_CI_unitstride_sbrr_C2R_dirReg
	.globl	fft_rtc_fwd_len2700_factors_3_10_10_3_3_wgs_90_tpt_90_halfLds_dp_op_CI_CI_unitstride_sbrr_C2R_dirReg
	.p2align	8
	.type	fft_rtc_fwd_len2700_factors_3_10_10_3_3_wgs_90_tpt_90_halfLds_dp_op_CI_CI_unitstride_sbrr_C2R_dirReg,@function
fft_rtc_fwd_len2700_factors_3_10_10_3_3_wgs_90_tpt_90_halfLds_dp_op_CI_CI_unitstride_sbrr_C2R_dirReg: ; @fft_rtc_fwd_len2700_factors_3_10_10_3_3_wgs_90_tpt_90_halfLds_dp_op_CI_CI_unitstride_sbrr_C2R_dirReg
; %bb.0:
	s_load_dwordx4 s[8:11], s[4:5], 0x58
	s_load_dwordx4 s[12:15], s[4:5], 0x0
	;; [unrolled: 1-line block ×3, first 2 shown]
	v_mul_u32_u24_e32 v1, 0x2d9, v0
	v_add_u32_sdwa v5, s6, v1 dst_sel:DWORD dst_unused:UNUSED_PAD src0_sel:DWORD src1_sel:WORD_1
	v_mov_b32_e32 v3, 0
	s_waitcnt lgkmcnt(0)
	v_cmp_lt_u64_e64 s[0:1], s[14:15], 2
	v_mov_b32_e32 v1, 0
	v_mov_b32_e32 v6, v3
	s_and_b64 vcc, exec, s[0:1]
	v_mov_b32_e32 v2, 0
	s_cbranch_vccnz .LBB0_8
; %bb.1:
	s_load_dwordx2 s[0:1], s[4:5], 0x10
	s_add_u32 s2, s18, 8
	s_addc_u32 s3, s19, 0
	s_add_u32 s6, s16, 8
	v_mov_b32_e32 v1, 0
	s_addc_u32 s7, s17, 0
	v_mov_b32_e32 v2, 0
	s_waitcnt lgkmcnt(0)
	s_add_u32 s20, s0, 8
	v_mov_b32_e32 v47, v2
	s_addc_u32 s21, s1, 0
	s_mov_b64 s[22:23], 1
	v_mov_b32_e32 v46, v1
.LBB0_2:                                ; =>This Inner Loop Header: Depth=1
	s_load_dwordx2 s[24:25], s[20:21], 0x0
                                        ; implicit-def: $vgpr48_vgpr49
	s_waitcnt lgkmcnt(0)
	v_or_b32_e32 v4, s25, v6
	v_cmp_ne_u64_e32 vcc, 0, v[3:4]
	s_and_saveexec_b64 s[0:1], vcc
	s_xor_b64 s[26:27], exec, s[0:1]
	s_cbranch_execz .LBB0_4
; %bb.3:                                ;   in Loop: Header=BB0_2 Depth=1
	v_cvt_f32_u32_e32 v4, s24
	v_cvt_f32_u32_e32 v7, s25
	s_sub_u32 s0, 0, s24
	s_subb_u32 s1, 0, s25
	v_mac_f32_e32 v4, 0x4f800000, v7
	v_rcp_f32_e32 v4, v4
	v_mul_f32_e32 v4, 0x5f7ffffc, v4
	v_mul_f32_e32 v7, 0x2f800000, v4
	v_trunc_f32_e32 v7, v7
	v_mac_f32_e32 v4, 0xcf800000, v7
	v_cvt_u32_f32_e32 v7, v7
	v_cvt_u32_f32_e32 v4, v4
	v_mul_lo_u32 v8, s0, v7
	v_mul_hi_u32 v9, s0, v4
	v_mul_lo_u32 v11, s1, v4
	v_mul_lo_u32 v10, s0, v4
	v_add_u32_e32 v8, v9, v8
	v_add_u32_e32 v8, v8, v11
	v_mul_hi_u32 v9, v4, v10
	v_mul_lo_u32 v11, v4, v8
	v_mul_hi_u32 v13, v4, v8
	v_mul_hi_u32 v12, v7, v10
	v_mul_lo_u32 v10, v7, v10
	v_mul_hi_u32 v14, v7, v8
	v_add_co_u32_e32 v9, vcc, v9, v11
	v_addc_co_u32_e32 v11, vcc, 0, v13, vcc
	v_mul_lo_u32 v8, v7, v8
	v_add_co_u32_e32 v9, vcc, v9, v10
	v_addc_co_u32_e32 v9, vcc, v11, v12, vcc
	v_addc_co_u32_e32 v10, vcc, 0, v14, vcc
	v_add_co_u32_e32 v8, vcc, v9, v8
	v_addc_co_u32_e32 v9, vcc, 0, v10, vcc
	v_add_co_u32_e32 v4, vcc, v4, v8
	v_addc_co_u32_e32 v7, vcc, v7, v9, vcc
	v_mul_lo_u32 v8, s0, v7
	v_mul_hi_u32 v9, s0, v4
	v_mul_lo_u32 v10, s1, v4
	v_mul_lo_u32 v11, s0, v4
	v_add_u32_e32 v8, v9, v8
	v_add_u32_e32 v8, v8, v10
	v_mul_lo_u32 v12, v4, v8
	v_mul_hi_u32 v13, v4, v11
	v_mul_hi_u32 v14, v4, v8
	v_mul_hi_u32 v10, v7, v11
	v_mul_lo_u32 v11, v7, v11
	v_mul_hi_u32 v9, v7, v8
	v_add_co_u32_e32 v12, vcc, v13, v12
	v_addc_co_u32_e32 v13, vcc, 0, v14, vcc
	v_mul_lo_u32 v8, v7, v8
	v_add_co_u32_e32 v11, vcc, v12, v11
	v_addc_co_u32_e32 v10, vcc, v13, v10, vcc
	v_addc_co_u32_e32 v9, vcc, 0, v9, vcc
	v_add_co_u32_e32 v8, vcc, v10, v8
	v_addc_co_u32_e32 v9, vcc, 0, v9, vcc
	v_add_co_u32_e32 v4, vcc, v4, v8
	v_addc_co_u32_e32 v9, vcc, v7, v9, vcc
	v_mad_u64_u32 v[7:8], s[0:1], v5, v9, 0
	v_mul_hi_u32 v10, v5, v4
	v_add_co_u32_e32 v11, vcc, v10, v7
	v_addc_co_u32_e32 v12, vcc, 0, v8, vcc
	v_mad_u64_u32 v[7:8], s[0:1], v6, v4, 0
	v_mad_u64_u32 v[9:10], s[0:1], v6, v9, 0
	v_add_co_u32_e32 v4, vcc, v11, v7
	v_addc_co_u32_e32 v4, vcc, v12, v8, vcc
	v_addc_co_u32_e32 v7, vcc, 0, v10, vcc
	v_add_co_u32_e32 v4, vcc, v4, v9
	v_addc_co_u32_e32 v9, vcc, 0, v7, vcc
	v_mul_lo_u32 v10, s25, v4
	v_mul_lo_u32 v11, s24, v9
	v_mad_u64_u32 v[7:8], s[0:1], s24, v4, 0
	v_add3_u32 v8, v8, v11, v10
	v_sub_u32_e32 v10, v6, v8
	v_mov_b32_e32 v11, s25
	v_sub_co_u32_e32 v7, vcc, v5, v7
	v_subb_co_u32_e64 v10, s[0:1], v10, v11, vcc
	v_subrev_co_u32_e64 v11, s[0:1], s24, v7
	v_subbrev_co_u32_e64 v10, s[0:1], 0, v10, s[0:1]
	v_cmp_le_u32_e64 s[0:1], s25, v10
	v_cndmask_b32_e64 v12, 0, -1, s[0:1]
	v_cmp_le_u32_e64 s[0:1], s24, v11
	v_cndmask_b32_e64 v11, 0, -1, s[0:1]
	v_cmp_eq_u32_e64 s[0:1], s25, v10
	v_cndmask_b32_e64 v10, v12, v11, s[0:1]
	v_add_co_u32_e64 v11, s[0:1], 2, v4
	v_addc_co_u32_e64 v12, s[0:1], 0, v9, s[0:1]
	v_add_co_u32_e64 v13, s[0:1], 1, v4
	v_addc_co_u32_e64 v14, s[0:1], 0, v9, s[0:1]
	v_subb_co_u32_e32 v8, vcc, v6, v8, vcc
	v_cmp_ne_u32_e64 s[0:1], 0, v10
	v_cmp_le_u32_e32 vcc, s25, v8
	v_cndmask_b32_e64 v10, v14, v12, s[0:1]
	v_cndmask_b32_e64 v12, 0, -1, vcc
	v_cmp_le_u32_e32 vcc, s24, v7
	v_cndmask_b32_e64 v7, 0, -1, vcc
	v_cmp_eq_u32_e32 vcc, s25, v8
	v_cndmask_b32_e32 v7, v12, v7, vcc
	v_cmp_ne_u32_e32 vcc, 0, v7
	v_cndmask_b32_e64 v7, v13, v11, s[0:1]
	v_cndmask_b32_e32 v49, v9, v10, vcc
	v_cndmask_b32_e32 v48, v4, v7, vcc
.LBB0_4:                                ;   in Loop: Header=BB0_2 Depth=1
	s_andn2_saveexec_b64 s[0:1], s[26:27]
	s_cbranch_execz .LBB0_6
; %bb.5:                                ;   in Loop: Header=BB0_2 Depth=1
	v_cvt_f32_u32_e32 v4, s24
	s_sub_i32 s26, 0, s24
	v_mov_b32_e32 v49, v3
	v_rcp_iflag_f32_e32 v4, v4
	v_mul_f32_e32 v4, 0x4f7ffffe, v4
	v_cvt_u32_f32_e32 v4, v4
	v_mul_lo_u32 v7, s26, v4
	v_mul_hi_u32 v7, v4, v7
	v_add_u32_e32 v4, v4, v7
	v_mul_hi_u32 v4, v5, v4
	v_mul_lo_u32 v7, v4, s24
	v_add_u32_e32 v8, 1, v4
	v_sub_u32_e32 v7, v5, v7
	v_subrev_u32_e32 v9, s24, v7
	v_cmp_le_u32_e32 vcc, s24, v7
	v_cndmask_b32_e32 v7, v7, v9, vcc
	v_cndmask_b32_e32 v4, v4, v8, vcc
	v_add_u32_e32 v8, 1, v4
	v_cmp_le_u32_e32 vcc, s24, v7
	v_cndmask_b32_e32 v48, v4, v8, vcc
.LBB0_6:                                ;   in Loop: Header=BB0_2 Depth=1
	s_or_b64 exec, exec, s[0:1]
	v_mul_lo_u32 v4, v49, s24
	v_mul_lo_u32 v9, v48, s25
	v_mad_u64_u32 v[7:8], s[0:1], v48, s24, 0
	s_load_dwordx2 s[0:1], s[6:7], 0x0
	s_load_dwordx2 s[24:25], s[2:3], 0x0
	v_add3_u32 v4, v8, v9, v4
	v_sub_co_u32_e32 v5, vcc, v5, v7
	v_subb_co_u32_e32 v4, vcc, v6, v4, vcc
	s_waitcnt lgkmcnt(0)
	v_mul_lo_u32 v6, s0, v4
	v_mul_lo_u32 v7, s1, v5
	v_mad_u64_u32 v[1:2], s[0:1], s0, v5, v[1:2]
	v_mul_lo_u32 v4, s24, v4
	v_mul_lo_u32 v8, s25, v5
	v_mad_u64_u32 v[46:47], s[0:1], s24, v5, v[46:47]
	s_add_u32 s22, s22, 1
	s_addc_u32 s23, s23, 0
	s_add_u32 s2, s2, 8
	v_add3_u32 v47, v8, v47, v4
	s_addc_u32 s3, s3, 0
	v_mov_b32_e32 v4, s14
	s_add_u32 s6, s6, 8
	v_mov_b32_e32 v5, s15
	s_addc_u32 s7, s7, 0
	v_cmp_ge_u64_e32 vcc, s[22:23], v[4:5]
	s_add_u32 s20, s20, 8
	v_add3_u32 v2, v7, v2, v6
	s_addc_u32 s21, s21, 0
	s_cbranch_vccnz .LBB0_9
; %bb.7:                                ;   in Loop: Header=BB0_2 Depth=1
	v_mov_b32_e32 v5, v48
	v_mov_b32_e32 v6, v49
	s_branch .LBB0_2
.LBB0_8:
	v_mov_b32_e32 v47, v2
	v_mov_b32_e32 v49, v6
	;; [unrolled: 1-line block ×4, first 2 shown]
.LBB0_9:
	s_load_dwordx2 s[4:5], s[4:5], 0x28
	s_lshl_b64 s[6:7], s[14:15], 3
	s_add_u32 s2, s18, s6
	s_addc_u32 s3, s19, s7
                                        ; implicit-def: $vgpr44
	s_waitcnt lgkmcnt(0)
	v_cmp_gt_u64_e64 s[0:1], s[4:5], v[48:49]
	v_cmp_le_u64_e32 vcc, s[4:5], v[48:49]
	s_and_saveexec_b64 s[4:5], vcc
	s_xor_b64 s[4:5], exec, s[4:5]
; %bb.10:
	s_mov_b32 s14, 0x2d82d83
	v_mul_hi_u32 v1, v0, s14
	v_mul_u32_u24_e32 v1, 0x5a, v1
	v_sub_u32_e32 v44, v0, v1
                                        ; implicit-def: $vgpr0
                                        ; implicit-def: $vgpr1_vgpr2
; %bb.11:
	s_or_saveexec_b64 s[4:5], s[4:5]
	s_load_dwordx2 s[2:3], s[2:3], 0x0
	s_xor_b64 exec, exec, s[4:5]
	s_cbranch_execz .LBB0_15
; %bb.12:
	s_add_u32 s6, s16, s6
	s_addc_u32 s7, s17, s7
	s_load_dwordx2 s[6:7], s[6:7], 0x0
	s_mov_b32 s14, 0x2d82d83
	v_mul_hi_u32 v5, v0, s14
	v_lshlrev_b64 v[1:2], 4, v[1:2]
	s_waitcnt lgkmcnt(0)
	v_mul_lo_u32 v6, s7, v48
	v_mul_lo_u32 v7, s6, v49
	v_mad_u64_u32 v[3:4], s[6:7], s6, v48, 0
	v_mul_u32_u24_e32 v5, 0x5a, v5
	v_sub_u32_e32 v44, v0, v5
	v_add3_u32 v4, v4, v7, v6
	v_lshlrev_b64 v[3:4], 4, v[3:4]
	v_mov_b32_e32 v0, s9
	v_add_co_u32_e32 v3, vcc, s8, v3
	v_addc_co_u32_e32 v0, vcc, v0, v4, vcc
	v_add_co_u32_e32 v1, vcc, v3, v1
	v_addc_co_u32_e32 v0, vcc, v0, v2, vcc
	v_lshlrev_b32_e32 v45, 4, v44
	v_add_co_u32_e32 v42, vcc, v1, v45
	v_addc_co_u32_e32 v43, vcc, 0, v0, vcc
	s_movk_i32 s6, 0x1000
	v_add_co_u32_e32 v34, vcc, s6, v42
	v_addc_co_u32_e32 v35, vcc, 0, v43, vcc
	s_movk_i32 s6, 0x2000
	;; [unrolled: 3-line block ×7, first 2 shown]
	v_add_co_u32_e32 v114, vcc, s6, v42
	v_addc_co_u32_e32 v115, vcc, 0, v43, vcc
	s_mov_b32 s6, 0x8000
	v_add_co_u32_e32 v116, vcc, s6, v42
	v_addc_co_u32_e32 v117, vcc, 0, v43, vcc
	s_mov_b32 s6, 0x9000
	v_add_co_u32_e32 v122, vcc, s6, v42
	v_addc_co_u32_e32 v123, vcc, 0, v43, vcc
	global_load_dwordx4 v[2:5], v[42:43], off
	global_load_dwordx4 v[6:9], v[42:43], off offset:1440
	global_load_dwordx4 v[10:13], v[42:43], off offset:2880
	;; [unrolled: 1-line block ×3, first 2 shown]
	v_add_co_u32_e32 v42, vcc, 0xa000, v42
	global_load_dwordx4 v[18:21], v[34:35], off offset:1664
	global_load_dwordx4 v[22:25], v[34:35], off offset:3104
	global_load_dwordx4 v[26:29], v[58:59], off offset:448
	global_load_dwordx4 v[30:33], v[58:59], off offset:1888
	s_nop 0
	global_load_dwordx4 v[34:37], v[58:59], off offset:3328
	global_load_dwordx4 v[38:41], v[60:61], off offset:672
	global_load_dwordx4 v[50:53], v[60:61], off offset:2112
	global_load_dwordx4 v[54:57], v[60:61], off offset:3552
	s_nop 0
	;; [unrolled: 5-line block ×4, first 2 shown]
	global_load_dwordx4 v[90:93], v[114:115], off offset:128
	global_load_dwordx4 v[94:97], v[114:115], off offset:1568
	;; [unrolled: 1-line block ×6, first 2 shown]
	s_nop 0
	global_load_dwordx4 v[114:117], v[122:123], off offset:576
	global_load_dwordx4 v[118:121], v[122:123], off offset:2016
	v_addc_co_u32_e32 v43, vcc, 0, v43, vcc
	global_load_dwordx4 v[122:125], v[122:123], off offset:3456
	s_nop 0
	global_load_dwordx4 v[126:129], v[42:43], off offset:800
	s_movk_i32 s6, 0x59
	v_add_u32_e32 v42, 0, v45
	v_cmp_eq_u32_e32 vcc, s6, v44
	s_waitcnt vmcnt(29)
	ds_write_b128 v42, v[2:5]
	s_waitcnt vmcnt(28)
	ds_write_b128 v42, v[6:9] offset:1440
	s_waitcnt vmcnt(27)
	ds_write_b128 v42, v[10:13] offset:2880
	;; [unrolled: 2-line block ×29, first 2 shown]
	s_and_saveexec_b64 s[6:7], vcc
	s_cbranch_execz .LBB0_14
; %bb.13:
	v_add_co_u32_e32 v1, vcc, 0xa000, v1
	v_addc_co_u32_e32 v2, vcc, 0, v0, vcc
	global_load_dwordx4 v[0:3], v[1:2], off offset:2240
	v_mov_b32_e32 v4, 0
	v_mov_b32_e32 v44, 0x59
	s_waitcnt vmcnt(0)
	ds_write_b128 v4, v[0:3] offset:43200
.LBB0_14:
	s_or_b64 exec, exec, s[6:7]
.LBB0_15:
	s_or_b64 exec, exec, s[4:5]
	v_lshlrev_b32_e32 v0, 4, v44
	v_add_u32_e32 v90, 0, v0
	s_waitcnt lgkmcnt(0)
	s_barrier
	v_sub_u32_e32 v12, 0, v0
	ds_read_b64 v[6:7], v90
	ds_read_b64 v[8:9], v12 offset:43200
	s_add_u32 s6, s12, 0xa890
	s_addc_u32 s7, s13, 0
	v_cmp_ne_u32_e32 vcc, 0, v44
                                        ; implicit-def: $vgpr4_vgpr5
	s_waitcnt lgkmcnt(0)
	v_add_f64 v[0:1], v[6:7], v[8:9]
	v_add_f64 v[2:3], v[6:7], -v[8:9]
	s_and_saveexec_b64 s[4:5], vcc
	s_xor_b64 s[4:5], exec, s[4:5]
	s_cbranch_execz .LBB0_17
; %bb.16:
	v_mov_b32_e32 v45, 0
	v_lshlrev_b64 v[0:1], 4, v[44:45]
	v_mov_b32_e32 v2, s7
	v_add_co_u32_e32 v0, vcc, s6, v0
	v_addc_co_u32_e32 v1, vcc, v2, v1, vcc
	global_load_dwordx4 v[2:5], v[0:1], off
	ds_read_b64 v[0:1], v12 offset:43208
	ds_read_b64 v[10:11], v90 offset:8
	v_add_f64 v[13:14], v[6:7], v[8:9]
	v_add_f64 v[8:9], v[6:7], -v[8:9]
	s_waitcnt lgkmcnt(0)
	v_add_f64 v[15:16], v[0:1], v[10:11]
	v_add_f64 v[0:1], v[10:11], -v[0:1]
	s_waitcnt vmcnt(0)
	v_fma_f64 v[6:7], -v[8:9], v[4:5], v[13:14]
	v_fma_f64 v[10:11], v[15:16], v[4:5], -v[0:1]
	v_fma_f64 v[13:14], v[8:9], v[4:5], v[13:14]
	v_fma_f64 v[17:18], v[15:16], v[4:5], v[0:1]
	;; [unrolled: 1-line block ×4, first 2 shown]
	v_fma_f64 v[0:1], -v[15:16], v[2:3], v[13:14]
	v_fma_f64 v[2:3], v[8:9], v[2:3], v[17:18]
	ds_write_b128 v12, v[4:7] offset:43200
	v_mov_b32_e32 v4, v44
	v_mov_b32_e32 v5, v45
.LBB0_17:
	s_andn2_saveexec_b64 s[4:5], s[4:5]
	s_cbranch_execz .LBB0_19
; %bb.18:
	v_mov_b32_e32 v13, 0
	ds_read_b128 v[4:7], v13 offset:21600
	s_waitcnt lgkmcnt(0)
	v_add_f64 v[8:9], v[4:5], v[4:5]
	v_mul_f64 v[10:11], v[6:7], -2.0
	v_mov_b32_e32 v4, 0
	v_mov_b32_e32 v5, 0
	ds_write_b128 v13, v[8:11] offset:21600
.LBB0_19:
	s_or_b64 exec, exec, s[4:5]
	v_lshlrev_b64 v[4:5], 4, v[4:5]
	v_mov_b32_e32 v6, s7
	v_add_co_u32_e32 v4, vcc, s6, v4
	v_addc_co_u32_e32 v5, vcc, v6, v5, vcc
	global_load_dwordx4 v[6:9], v[4:5], off offset:1440
	global_load_dwordx4 v[13:16], v[4:5], off offset:2880
	s_movk_i32 s25, 0x1000
	v_add_co_u32_e32 v25, vcc, s25, v4
	ds_write_b128 v90, v[0:3]
	v_addc_co_u32_e32 v26, vcc, 0, v5, vcc
	ds_read_b128 v[0:3], v90 offset:1440
	ds_read_b128 v[17:20], v12 offset:41760
	global_load_dwordx4 v[21:24], v[25:26], off offset:224
	s_movk_i32 s4, 0x2000
	s_movk_i32 s24, 0x3000
	s_movk_i32 s8, 0xab
	s_waitcnt lgkmcnt(0)
	v_add_f64 v[10:11], v[0:1], v[17:18]
	v_add_f64 v[27:28], v[19:20], v[2:3]
	v_add_f64 v[17:18], v[0:1], -v[17:18]
	v_add_f64 v[0:1], v[2:3], -v[19:20]
	v_mov_b32_e32 v92, 9
	s_mov_b32 s7, 0xbfebb67a
	v_mad_u32_u24 v45, v44, 48, 0
	v_add_u32_e32 v91, 0x5468, v45
	v_add_u32_e32 v219, 0x5478, v45
	;; [unrolled: 1-line block ×10, first 2 shown]
	s_mov_b32 s15, 0xbfee6f0e
	s_mov_b32 s16, 0x4755a5e
	;; [unrolled: 1-line block ×9, first 2 shown]
	s_movk_i32 s26, 0x89
	s_waitcnt vmcnt(2)
	v_fma_f64 v[2:3], v[17:18], v[8:9], v[10:11]
	v_fma_f64 v[19:20], v[27:28], v[8:9], v[0:1]
	v_fma_f64 v[10:11], -v[17:18], v[8:9], v[10:11]
	v_fma_f64 v[29:30], v[27:28], v[8:9], -v[0:1]
	v_fma_f64 v[0:1], -v[27:28], v[6:7], v[2:3]
	v_fma_f64 v[2:3], v[17:18], v[6:7], v[19:20]
	v_fma_f64 v[8:9], v[27:28], v[6:7], v[10:11]
	;; [unrolled: 1-line block ×3, first 2 shown]
	ds_write_b128 v90, v[0:3] offset:1440
	ds_write_b128 v12, v[8:11] offset:41760
	ds_read_b128 v[0:3], v90 offset:2880
	ds_read_b128 v[6:9], v12 offset:40320
	global_load_dwordx4 v[17:20], v[25:26], off offset:1664
	s_waitcnt lgkmcnt(0)
	v_add_f64 v[10:11], v[0:1], v[6:7]
	v_add_f64 v[27:28], v[8:9], v[2:3]
	v_add_f64 v[29:30], v[0:1], -v[6:7]
	v_add_f64 v[0:1], v[2:3], -v[8:9]
	s_waitcnt vmcnt(2)
	v_fma_f64 v[2:3], v[29:30], v[15:16], v[10:11]
	v_fma_f64 v[6:7], v[27:28], v[15:16], v[0:1]
	v_fma_f64 v[8:9], -v[29:30], v[15:16], v[10:11]
	v_fma_f64 v[10:11], v[27:28], v[15:16], -v[0:1]
	v_fma_f64 v[0:1], -v[27:28], v[13:14], v[2:3]
	v_fma_f64 v[2:3], v[29:30], v[13:14], v[6:7]
	v_fma_f64 v[6:7], v[27:28], v[13:14], v[8:9]
	;; [unrolled: 1-line block ×3, first 2 shown]
	ds_write_b128 v90, v[0:3] offset:2880
	ds_write_b128 v12, v[6:9] offset:40320
	ds_read_b128 v[0:3], v90 offset:4320
	ds_read_b128 v[6:9], v12 offset:38880
	global_load_dwordx4 v[13:16], v[25:26], off offset:3104
	s_waitcnt lgkmcnt(0)
	v_add_f64 v[10:11], v[0:1], v[6:7]
	v_add_f64 v[25:26], v[8:9], v[2:3]
	v_add_f64 v[27:28], v[0:1], -v[6:7]
	v_add_f64 v[0:1], v[2:3], -v[8:9]
	s_waitcnt vmcnt(2)
	v_fma_f64 v[2:3], v[27:28], v[23:24], v[10:11]
	v_fma_f64 v[6:7], v[25:26], v[23:24], v[0:1]
	v_fma_f64 v[8:9], -v[27:28], v[23:24], v[10:11]
	v_fma_f64 v[10:11], v[25:26], v[23:24], -v[0:1]
	v_fma_f64 v[0:1], -v[25:26], v[21:22], v[2:3]
	v_fma_f64 v[2:3], v[27:28], v[21:22], v[6:7]
	v_fma_f64 v[6:7], v[25:26], v[21:22], v[8:9]
	;; [unrolled: 1-line block ×3, first 2 shown]
	v_add_co_u32_e32 v10, vcc, s4, v4
	ds_write_b128 v90, v[0:3] offset:4320
	ds_write_b128 v12, v[6:9] offset:38880
	v_addc_co_u32_e32 v11, vcc, 0, v5, vcc
	ds_read_b128 v[0:3], v90 offset:5760
	ds_read_b128 v[6:9], v12 offset:37440
	global_load_dwordx4 v[21:24], v[10:11], off offset:448
	s_movk_i32 s4, 0x4000
	s_waitcnt lgkmcnt(0)
	v_add_f64 v[25:26], v[0:1], v[6:7]
	v_add_f64 v[27:28], v[8:9], v[2:3]
	v_add_f64 v[29:30], v[0:1], -v[6:7]
	v_add_f64 v[0:1], v[2:3], -v[8:9]
	s_waitcnt vmcnt(2)
	v_fma_f64 v[2:3], v[29:30], v[19:20], v[25:26]
	v_fma_f64 v[6:7], v[27:28], v[19:20], v[0:1]
	v_fma_f64 v[8:9], -v[29:30], v[19:20], v[25:26]
	v_fma_f64 v[19:20], v[27:28], v[19:20], -v[0:1]
	v_fma_f64 v[0:1], -v[27:28], v[17:18], v[2:3]
	v_fma_f64 v[2:3], v[29:30], v[17:18], v[6:7]
	v_fma_f64 v[6:7], v[27:28], v[17:18], v[8:9]
	;; [unrolled: 1-line block ×3, first 2 shown]
	ds_write_b128 v90, v[0:3] offset:5760
	ds_write_b128 v12, v[6:9] offset:37440
	ds_read_b128 v[0:3], v90 offset:7200
	ds_read_b128 v[6:9], v12 offset:36000
	global_load_dwordx4 v[17:20], v[10:11], off offset:1888
	s_waitcnt lgkmcnt(0)
	v_add_f64 v[25:26], v[0:1], v[6:7]
	v_add_f64 v[27:28], v[8:9], v[2:3]
	v_add_f64 v[29:30], v[0:1], -v[6:7]
	v_add_f64 v[0:1], v[2:3], -v[8:9]
	s_waitcnt vmcnt(2)
	v_fma_f64 v[2:3], v[29:30], v[15:16], v[25:26]
	v_fma_f64 v[6:7], v[27:28], v[15:16], v[0:1]
	v_fma_f64 v[8:9], -v[29:30], v[15:16], v[25:26]
	v_fma_f64 v[15:16], v[27:28], v[15:16], -v[0:1]
	v_fma_f64 v[0:1], -v[27:28], v[13:14], v[2:3]
	v_fma_f64 v[2:3], v[29:30], v[13:14], v[6:7]
	v_fma_f64 v[6:7], v[27:28], v[13:14], v[8:9]
	;; [unrolled: 1-line block ×3, first 2 shown]
	ds_write_b128 v90, v[0:3] offset:7200
	ds_write_b128 v12, v[6:9] offset:36000
	ds_read_b128 v[0:3], v90 offset:8640
	ds_read_b128 v[6:9], v12 offset:34560
	global_load_dwordx4 v[13:16], v[10:11], off offset:3328
	s_waitcnt lgkmcnt(0)
	v_add_f64 v[10:11], v[0:1], v[6:7]
	v_add_f64 v[25:26], v[8:9], v[2:3]
	v_add_f64 v[27:28], v[0:1], -v[6:7]
	v_add_f64 v[0:1], v[2:3], -v[8:9]
	s_waitcnt vmcnt(2)
	v_fma_f64 v[2:3], v[27:28], v[23:24], v[10:11]
	v_fma_f64 v[6:7], v[25:26], v[23:24], v[0:1]
	v_fma_f64 v[8:9], -v[27:28], v[23:24], v[10:11]
	v_fma_f64 v[10:11], v[25:26], v[23:24], -v[0:1]
	v_fma_f64 v[0:1], -v[25:26], v[21:22], v[2:3]
	v_fma_f64 v[2:3], v[27:28], v[21:22], v[6:7]
	v_fma_f64 v[6:7], v[25:26], v[21:22], v[8:9]
	;; [unrolled: 1-line block ×3, first 2 shown]
	v_add_co_u32_e32 v10, vcc, s24, v4
	ds_write_b128 v90, v[0:3] offset:8640
	ds_write_b128 v12, v[6:9] offset:34560
	v_addc_co_u32_e32 v11, vcc, 0, v5, vcc
	ds_read_b128 v[0:3], v90 offset:10080
	ds_read_b128 v[6:9], v12 offset:33120
	global_load_dwordx4 v[21:24], v[10:11], off offset:672
	s_waitcnt lgkmcnt(0)
	v_add_f64 v[25:26], v[0:1], v[6:7]
	v_add_f64 v[27:28], v[8:9], v[2:3]
	v_add_f64 v[29:30], v[0:1], -v[6:7]
	v_add_f64 v[0:1], v[2:3], -v[8:9]
	s_waitcnt vmcnt(2)
	v_fma_f64 v[2:3], v[29:30], v[19:20], v[25:26]
	v_fma_f64 v[6:7], v[27:28], v[19:20], v[0:1]
	v_fma_f64 v[8:9], -v[29:30], v[19:20], v[25:26]
	v_fma_f64 v[19:20], v[27:28], v[19:20], -v[0:1]
	v_fma_f64 v[0:1], -v[27:28], v[17:18], v[2:3]
	v_fma_f64 v[2:3], v[29:30], v[17:18], v[6:7]
	v_fma_f64 v[6:7], v[27:28], v[17:18], v[8:9]
	;; [unrolled: 1-line block ×3, first 2 shown]
	ds_write_b128 v90, v[0:3] offset:10080
	ds_write_b128 v12, v[6:9] offset:33120
	ds_read_b128 v[0:3], v90 offset:11520
	ds_read_b128 v[6:9], v12 offset:31680
	global_load_dwordx4 v[17:20], v[10:11], off offset:2112
	s_waitcnt lgkmcnt(0)
	v_add_f64 v[25:26], v[0:1], v[6:7]
	v_add_f64 v[27:28], v[8:9], v[2:3]
	v_add_f64 v[29:30], v[0:1], -v[6:7]
	v_add_f64 v[0:1], v[2:3], -v[8:9]
	s_waitcnt vmcnt(2)
	v_fma_f64 v[2:3], v[29:30], v[15:16], v[25:26]
	v_fma_f64 v[6:7], v[27:28], v[15:16], v[0:1]
	v_fma_f64 v[8:9], -v[29:30], v[15:16], v[25:26]
	v_fma_f64 v[15:16], v[27:28], v[15:16], -v[0:1]
	v_fma_f64 v[0:1], -v[27:28], v[13:14], v[2:3]
	v_fma_f64 v[2:3], v[29:30], v[13:14], v[6:7]
	v_fma_f64 v[6:7], v[27:28], v[13:14], v[8:9]
	;; [unrolled: 1-line block ×3, first 2 shown]
	ds_write_b128 v90, v[0:3] offset:11520
	ds_write_b128 v12, v[6:9] offset:31680
	ds_read_b128 v[0:3], v90 offset:12960
	ds_read_b128 v[6:9], v12 offset:30240
	global_load_dwordx4 v[13:16], v[10:11], off offset:3552
	s_waitcnt lgkmcnt(0)
	v_add_f64 v[10:11], v[0:1], v[6:7]
	v_add_f64 v[25:26], v[8:9], v[2:3]
	v_add_f64 v[27:28], v[0:1], -v[6:7]
	v_add_f64 v[0:1], v[2:3], -v[8:9]
	s_waitcnt vmcnt(2)
	v_fma_f64 v[2:3], v[27:28], v[23:24], v[10:11]
	v_fma_f64 v[6:7], v[25:26], v[23:24], v[0:1]
	v_fma_f64 v[8:9], -v[27:28], v[23:24], v[10:11]
	v_fma_f64 v[10:11], v[25:26], v[23:24], -v[0:1]
	v_fma_f64 v[0:1], -v[25:26], v[21:22], v[2:3]
	v_fma_f64 v[2:3], v[27:28], v[21:22], v[6:7]
	v_fma_f64 v[6:7], v[25:26], v[21:22], v[8:9]
	;; [unrolled: 1-line block ×3, first 2 shown]
	v_add_co_u32_e32 v25, vcc, s4, v4
	ds_write_b128 v90, v[0:3] offset:12960
	ds_write_b128 v12, v[6:9] offset:30240
	v_addc_co_u32_e32 v26, vcc, 0, v5, vcc
	ds_read_b128 v[0:3], v90 offset:14400
	ds_read_b128 v[6:9], v12 offset:28800
	global_load_dwordx4 v[21:24], v[25:26], off offset:896
	s_mov_b32 s4, 0xe8584caa
	s_mov_b32 s5, 0x3febb67a
	;; [unrolled: 1-line block ×3, first 2 shown]
	s_waitcnt lgkmcnt(0)
	v_add_f64 v[4:5], v[0:1], v[6:7]
	v_add_f64 v[10:11], v[8:9], v[2:3]
	v_add_f64 v[6:7], v[0:1], -v[6:7]
	v_add_f64 v[0:1], v[2:3], -v[8:9]
	s_waitcnt vmcnt(2)
	v_fma_f64 v[2:3], v[6:7], v[19:20], v[4:5]
	v_fma_f64 v[8:9], v[10:11], v[19:20], v[0:1]
	v_fma_f64 v[4:5], -v[6:7], v[19:20], v[4:5]
	v_fma_f64 v[19:20], v[10:11], v[19:20], -v[0:1]
	v_fma_f64 v[0:1], -v[10:11], v[17:18], v[2:3]
	v_fma_f64 v[2:3], v[6:7], v[17:18], v[8:9]
	v_fma_f64 v[4:5], v[10:11], v[17:18], v[4:5]
	;; [unrolled: 1-line block ×3, first 2 shown]
	ds_write_b128 v90, v[0:3] offset:14400
	ds_write_b128 v12, v[4:7] offset:28800
	ds_read_b128 v[0:3], v90 offset:15840
	ds_read_b128 v[4:7], v12 offset:27360
	global_load_dwordx4 v[17:20], v[25:26], off offset:2336
	s_waitcnt lgkmcnt(0)
	v_add_f64 v[8:9], v[0:1], v[4:5]
	v_add_f64 v[10:11], v[6:7], v[2:3]
	v_add_f64 v[27:28], v[0:1], -v[4:5]
	v_add_f64 v[0:1], v[2:3], -v[6:7]
	s_waitcnt vmcnt(2)
	v_fma_f64 v[2:3], v[27:28], v[15:16], v[8:9]
	v_fma_f64 v[4:5], v[10:11], v[15:16], v[0:1]
	v_fma_f64 v[6:7], -v[27:28], v[15:16], v[8:9]
	v_fma_f64 v[8:9], v[10:11], v[15:16], -v[0:1]
	v_fma_f64 v[0:1], -v[10:11], v[13:14], v[2:3]
	v_fma_f64 v[2:3], v[27:28], v[13:14], v[4:5]
	v_fma_f64 v[4:5], v[10:11], v[13:14], v[6:7]
	;; [unrolled: 1-line block ×3, first 2 shown]
	ds_write_b128 v90, v[0:3] offset:15840
	ds_write_b128 v12, v[4:7] offset:27360
	ds_read_b128 v[4:7], v90 offset:17280
	ds_read_b128 v[8:11], v12 offset:25920
	global_load_dwordx4 v[0:3], v[25:26], off offset:3776
	s_waitcnt lgkmcnt(0)
	v_add_f64 v[13:14], v[4:5], v[8:9]
	v_add_f64 v[15:16], v[10:11], v[6:7]
	v_add_f64 v[25:26], v[4:5], -v[8:9]
	v_add_f64 v[4:5], v[6:7], -v[10:11]
	s_waitcnt vmcnt(2)
	v_fma_f64 v[6:7], v[25:26], v[23:24], v[13:14]
	v_fma_f64 v[8:9], v[15:16], v[23:24], v[4:5]
	v_fma_f64 v[10:11], -v[25:26], v[23:24], v[13:14]
	v_fma_f64 v[13:14], v[15:16], v[23:24], -v[4:5]
	v_fma_f64 v[4:5], -v[15:16], v[21:22], v[6:7]
	v_fma_f64 v[6:7], v[25:26], v[21:22], v[8:9]
	v_fma_f64 v[8:9], v[15:16], v[21:22], v[10:11]
	;; [unrolled: 1-line block ×3, first 2 shown]
	ds_write_b128 v90, v[4:7] offset:17280
	ds_write_b128 v12, v[8:11] offset:25920
	ds_read_b128 v[4:7], v90 offset:18720
	ds_read_b128 v[8:11], v12 offset:24480
	s_waitcnt lgkmcnt(0)
	v_add_f64 v[13:14], v[4:5], v[8:9]
	v_add_f64 v[15:16], v[10:11], v[6:7]
	v_add_f64 v[21:22], v[4:5], -v[8:9]
	v_add_f64 v[4:5], v[6:7], -v[10:11]
	s_waitcnt vmcnt(1)
	v_fma_f64 v[6:7], v[21:22], v[19:20], v[13:14]
	v_fma_f64 v[8:9], v[15:16], v[19:20], v[4:5]
	v_fma_f64 v[10:11], -v[21:22], v[19:20], v[13:14]
	v_fma_f64 v[13:14], v[15:16], v[19:20], -v[4:5]
	v_fma_f64 v[4:5], -v[15:16], v[17:18], v[6:7]
	v_fma_f64 v[6:7], v[21:22], v[17:18], v[8:9]
	v_fma_f64 v[8:9], v[15:16], v[17:18], v[10:11]
	;; [unrolled: 1-line block ×3, first 2 shown]
	ds_write_b128 v90, v[4:7] offset:18720
	ds_write_b128 v12, v[8:11] offset:24480
	ds_read_b128 v[4:7], v90 offset:20160
	ds_read_b128 v[8:11], v12 offset:23040
	s_waitcnt lgkmcnt(0)
	v_add_f64 v[13:14], v[4:5], v[8:9]
	v_add_f64 v[15:16], v[10:11], v[6:7]
	v_add_f64 v[8:9], v[4:5], -v[8:9]
	v_add_f64 v[4:5], v[6:7], -v[10:11]
	s_waitcnt vmcnt(0)
	v_fma_f64 v[6:7], v[8:9], v[2:3], v[13:14]
	v_fma_f64 v[10:11], v[15:16], v[2:3], v[4:5]
	v_fma_f64 v[13:14], -v[8:9], v[2:3], v[13:14]
	v_fma_f64 v[17:18], v[15:16], v[2:3], -v[4:5]
	v_fma_f64 v[2:3], -v[15:16], v[0:1], v[6:7]
	v_fma_f64 v[4:5], v[8:9], v[0:1], v[10:11]
	v_fma_f64 v[6:7], v[15:16], v[0:1], v[13:14]
	v_fma_f64 v[8:9], v[8:9], v[0:1], v[17:18]
	v_mul_lo_u16_sdwa v0, v44, s8 dst_sel:DWORD dst_unused:UNUSED_PAD src0_sel:BYTE_0 src1_sel:DWORD
	v_lshrrev_b16_e32 v93, 9, v0
	v_mul_lo_u16_e32 v0, 3, v93
	v_sub_u16_e32 v96, v44, v0
	v_mul_u32_u24_sdwa v0, v96, v92 dst_sel:DWORD dst_unused:UNUSED_PAD src0_sel:BYTE_0 src1_sel:DWORD
	v_lshlrev_b32_e32 v228, 4, v0
	ds_write_b128 v90, v[2:5] offset:20160
	ds_write_b128 v12, v[6:9] offset:23040
	s_waitcnt lgkmcnt(0)
	s_barrier
	s_barrier
	ds_read_b128 v[0:3], v90 offset:1440
	ds_read_b128 v[4:7], v90 offset:2880
	ds_read_b128 v[8:11], v90 offset:15840
	ds_read_b128 v[12:15], v90 offset:17280
	ds_read_b128 v[16:19], v90 offset:30240
	ds_read_b128 v[20:23], v90 offset:31680
	ds_read_b128 v[24:27], v90 offset:4320
	ds_read_b128 v[28:31], v90 offset:5760
	ds_read_b128 v[32:35], v90 offset:18720
	ds_read_b128 v[36:39], v90 offset:20160
	ds_read_b128 v[40:43], v90 offset:33120
	ds_read_b128 v[50:53], v90 offset:34560
	ds_read_b128 v[54:57], v90 offset:7200
	ds_read_b128 v[58:61], v90 offset:8640
	ds_read_b128 v[62:65], v90 offset:21600
	ds_read_b128 v[66:69], v90 offset:23040
	ds_read_b128 v[70:73], v90 offset:36000
	ds_read_b128 v[74:77], v90 offset:37440
	ds_read_b128 v[78:81], v90 offset:10080
	ds_read_b128 v[82:85], v90 offset:11520
	ds_read_b128 v[86:89], v90 offset:24480
	ds_read_b128 v[97:100], v90 offset:25920
	ds_read_b128 v[101:104], v90 offset:38880
	ds_read_b128 v[105:108], v90 offset:40320
	ds_read_b128 v[109:112], v90 offset:14400
	ds_read_b128 v[113:116], v90 offset:12960
	ds_read_b128 v[117:120], v90 offset:28800
	ds_read_b128 v[121:124], v90 offset:27360
	ds_read_b128 v[125:128], v90
	ds_read_b128 v[129:132], v90 offset:41760
	s_waitcnt lgkmcnt(14)
	v_add_f64 v[139:140], v[0:1], v[8:9]
	s_waitcnt lgkmcnt(3)
	v_add_f64 v[135:136], v[109:110], v[117:118]
	v_add_f64 v[137:138], v[111:112], -v[119:120]
	s_waitcnt lgkmcnt(1)
	v_add_f64 v[133:134], v[127:128], v[111:112]
	v_add_f64 v[111:112], v[111:112], v[119:120]
	;; [unrolled: 1-line block ×10, first 2 shown]
	v_add_f64 v[169:170], v[34:35], -v[42:43]
	v_add_f64 v[171:172], v[34:35], v[42:43]
	v_add_f64 v[173:174], v[32:33], -v[40:41]
	v_add_f64 v[32:33], v[28:29], v[36:37]
	v_add_f64 v[34:35], v[30:31], v[38:39]
	;; [unrolled: 1-line block ×6, first 2 shown]
	v_add_f64 v[109:110], v[109:110], -v[117:118]
	v_add_f64 v[145:146], v[10:11], -v[18:19]
	;; [unrolled: 1-line block ×5, first 2 shown]
	v_add_f64 v[175:176], v[36:37], v[50:51]
	v_add_f64 v[177:178], v[38:39], -v[52:53]
	v_add_f64 v[38:39], v[38:39], v[52:53]
	v_add_f64 v[179:180], v[36:37], -v[50:51]
	v_add_f64 v[36:37], v[54:55], v[62:63]
	v_add_f64 v[181:182], v[56:57], v[64:65]
	v_add_f64 v[185:186], v[64:65], -v[72:73]
	v_add_f64 v[64:65], v[64:65], v[72:73]
	v_add_f64 v[187:188], v[62:63], -v[70:71]
	v_add_f64 v[62:63], v[58:59], v[66:67]
	v_add_f64 v[189:190], v[60:61], v[68:69]
	;; [unrolled: 1-line block ×3, first 2 shown]
	v_add_f64 v[193:194], v[68:69], -v[76:77]
	v_add_f64 v[68:69], v[68:69], v[76:77]
	v_add_f64 v[199:200], v[86:87], v[101:102]
	;; [unrolled: 1-line block ×5, first 2 shown]
	s_waitcnt lgkmcnt(0)
	v_add_f64 v[215:216], v[121:122], v[129:130]
	v_add_f64 v[217:218], v[123:124], v[131:132]
	;; [unrolled: 1-line block ×8, first 2 shown]
	v_fma_f64 v[40:41], v[135:136], -0.5, v[125:126]
	v_fma_f64 v[42:43], v[111:112], -0.5, v[127:128]
	v_add_f64 v[32:33], v[32:33], v[50:51]
	v_add_f64 v[34:35], v[34:35], v[52:53]
	v_fma_f64 v[50:51], v[143:144], -0.5, v[0:1]
	v_fma_f64 v[52:53], v[147:148], -0.5, v[2:3]
	v_add_f64 v[8:9], v[94:95], v[117:118]
	v_fma_f64 v[94:95], v[155:156], -0.5, v[4:5]
	v_fma_f64 v[111:112], v[159:160], -0.5, v[6:7]
	;; [unrolled: 3-line block ×3, first 2 shown]
	v_fma_f64 v[133:134], v[183:184], -0.5, v[54:55]
	v_add_f64 v[66:67], v[66:67], -v[74:75]
	v_add_f64 v[195:196], v[78:79], v[86:87]
	v_add_f64 v[197:198], v[80:81], v[88:89]
	v_add_f64 v[88:89], v[88:89], -v[103:104]
	v_add_f64 v[86:87], v[86:87], -v[101:102]
	v_add_f64 v[203:204], v[82:83], v[97:98]
	v_add_f64 v[205:206], v[84:85], v[99:100]
	v_add_f64 v[99:100], v[99:100], -v[107:108]
	;; [unrolled: 4-line block ×3, first 2 shown]
	v_add_f64 v[121:122], v[121:122], -v[129:130]
	v_fma_f64 v[125:126], v[175:176], -0.5, v[28:29]
	v_fma_f64 v[127:128], v[38:39], -0.5, v[30:31]
	;; [unrolled: 1-line block ×3, first 2 shown]
	v_add_f64 v[74:75], v[62:63], v[74:75]
	v_fma_f64 v[139:140], v[191:192], -0.5, v[58:59]
	v_fma_f64 v[68:69], v[68:69], -0.5, v[60:61]
	;; [unrolled: 1-line block ×8, first 2 shown]
	v_fma_f64 v[0:1], v[137:138], s[4:5], v[40:41]
	v_fma_f64 v[2:3], v[109:110], s[6:7], v[42:43]
	;; [unrolled: 1-line block ×8, first 2 shown]
	v_add_f64 v[70:71], v[36:37], v[70:71]
	v_fma_f64 v[36:37], v[157:158], s[4:5], v[94:95]
	v_fma_f64 v[38:39], v[161:162], s[6:7], v[111:112]
	;; [unrolled: 1-line block ×6, first 2 shown]
	s_barrier
	v_fma_f64 v[54:55], v[169:170], s[6:7], v[117:118]
	v_fma_f64 v[56:57], v[173:174], s[4:5], v[119:120]
	ds_write_b128 v45, v[8:11]
	ds_write_b128 v45, v[12:15] offset:4320
	ds_write_b128 v45, v[16:19] offset:8640
	;; [unrolled: 1-line block ×4, first 2 shown]
	ds_write_b64 v45, v[70:71] offset:21600
	v_fma_f64 v[8:9], v[185:186], s[4:5], v[133:134]
	v_fma_f64 v[10:11], v[185:186], s[6:7], v[133:134]
	v_add_f64 v[72:73], v[181:182], v[72:73]
	v_add_f64 v[76:77], v[189:190], v[76:77]
	;; [unrolled: 1-line block ×8, first 2 shown]
	v_fma_f64 v[58:59], v[177:178], s[4:5], v[125:126]
	v_fma_f64 v[62:63], v[177:178], s[6:7], v[125:126]
	;; [unrolled: 1-line block ×6, first 2 shown]
	ds_write_b64 v45, v[74:75] offset:25920
	v_fma_f64 v[16:17], v[193:194], s[4:5], v[139:140]
	v_fma_f64 v[18:19], v[193:194], s[6:7], v[139:140]
	;; [unrolled: 1-line block ×16, first 2 shown]
	ds_write_b128 v45, v[0:3] offset:16
	ds_write_b128 v45, v[4:7] offset:32
	;; [unrolled: 1-line block ×10, first 2 shown]
	ds_write2_b64 v91, v[72:73], v[8:9] offset1:1
	ds_write2_b64 v219, v[12:13], v[10:11] offset1:1
	ds_write_b64 v45, v[14:15] offset:21640
	ds_write2_b64 v220, v[76:77], v[16:17] offset1:1
	ds_write2_b64 v221, v[20:21], v[18:19] offset1:1
	ds_write_b64 v45, v[22:23] offset:25960
	ds_write_b64 v45, v[101:102] offset:30240
	ds_write2_b64 v222, v[103:104], v[32:33] offset1:1
	ds_write2_b64 v223, v[66:67], v[34:35] offset1:1
	ds_write_b64 v45, v[68:69] offset:30280
	;; [unrolled: 4-line block ×4, first 2 shown]
	s_waitcnt lgkmcnt(0)
	s_barrier
	global_load_dwordx4 v[4:7], v228, s[12:13]
	global_load_dwordx4 v[0:3], v228, s[12:13] offset:16
	global_load_dwordx4 v[8:11], v228, s[12:13] offset:32
	v_add_u32_e32 v45, 0x5a, v44
	v_mul_lo_u16_sdwa v20, v45, s8 dst_sel:DWORD dst_unused:UNUSED_PAD src0_sel:BYTE_0 src1_sel:DWORD
	v_lshrrev_b16_e32 v97, 9, v20
	v_mul_lo_u16_e32 v28, 3, v97
	s_mov_b32 s8, 0xaaab
	v_add_u32_e32 v91, 0xb4, v44
	global_load_dwordx4 v[12:15], v228, s[12:13] offset:48
	global_load_dwordx4 v[16:19], v228, s[12:13] offset:64
	v_sub_u16_e32 v98, v45, v28
	v_mul_u32_u24_sdwa v50, v91, s8 dst_sel:DWORD dst_unused:UNUSED_PAD src0_sel:WORD_0 src1_sel:DWORD
	v_mul_u32_u24_sdwa v36, v98, v92 dst_sel:DWORD dst_unused:UNUSED_PAD src0_sel:BYTE_0 src1_sel:DWORD
	v_lshrrev_b32_e32 v94, 17, v50
	v_lshlrev_b32_e32 v62, 4, v36
	v_mul_lo_u16_e32 v50, 3, v94
	global_load_dwordx4 v[20:23], v228, s[12:13] offset:80
	global_load_dwordx4 v[24:27], v228, s[12:13] offset:96
	;; [unrolled: 1-line block ×4, first 2 shown]
	global_load_dwordx4 v[36:39], v62, s[12:13]
	global_load_dwordx4 v[40:43], v62, s[12:13] offset:16
	v_sub_u16_e32 v95, v91, v50
	global_load_dwordx4 v[50:53], v62, s[12:13] offset:32
	global_load_dwordx4 v[66:69], v62, s[12:13] offset:48
	global_load_dwordx4 v[70:73], v62, s[12:13] offset:64
	v_mul_u32_u24_e32 v54, 9, v95
	v_lshlrev_b32_e32 v74, 4, v54
	ds_read_b128 v[54:57], v90 offset:4320
	ds_read_b128 v[58:61], v90 offset:5760
	global_load_dwordx4 v[80:83], v62, s[12:13] offset:80
	global_load_dwordx4 v[84:87], v62, s[12:13] offset:96
	;; [unrolled: 1-line block ×4, first 2 shown]
	ds_read_b128 v[62:65], v90 offset:12960
	ds_read_b128 v[76:79], v90 offset:14400
	global_load_dwordx4 v[107:110], v74, s[12:13]
	global_load_dwordx4 v[111:114], v74, s[12:13] offset:16
	ds_read_b128 v[115:118], v90 offset:21600
	ds_read_b128 v[119:122], v90 offset:23040
	;; [unrolled: 1-line block ×4, first 2 shown]
	global_load_dwordx4 v[131:134], v74, s[12:13] offset:32
	global_load_dwordx4 v[135:138], v74, s[12:13] offset:48
	ds_read_b128 v[139:142], v90 offset:38880
	ds_read_b128 v[143:146], v90 offset:40320
	;; [unrolled: 1-line block ×4, first 2 shown]
	global_load_dwordx4 v[155:158], v74, s[12:13] offset:64
	global_load_dwordx4 v[159:162], v74, s[12:13] offset:80
	ds_read_b128 v[163:166], v90 offset:10080
	ds_read_b128 v[167:170], v90 offset:11520
	;; [unrolled: 1-line block ×8, first 2 shown]
	global_load_dwordx4 v[195:198], v74, s[12:13] offset:96
	global_load_dwordx4 v[199:202], v74, s[12:13] offset:112
	;; [unrolled: 1-line block ×3, first 2 shown]
	s_mov_b32 s8, 0x134454ff
	s_mov_b32 s9, 0x3fee6f0e
	;; [unrolled: 1-line block ×3, first 2 shown]
	s_waitcnt vmcnt(26) lgkmcnt(14)
	v_mul_f64 v[74:75], v[56:57], v[6:7]
	s_waitcnt vmcnt(25) lgkmcnt(9)
	v_mul_f64 v[88:89], v[149:150], v[2:3]
	v_mul_f64 v[2:3], v[147:148], v[2:3]
	s_waitcnt vmcnt(24)
	v_mul_f64 v[207:208], v[64:65], v[10:11]
	v_mul_f64 v[10:11], v[62:63], v[10:11]
	;; [unrolled: 1-line block ×3, first 2 shown]
	v_fma_f64 v[225:226], v[54:55], v[4:5], -v[74:75]
	s_waitcnt vmcnt(23) lgkmcnt(5)
	v_mul_f64 v[209:210], v[173:174], v[14:15]
	v_mul_f64 v[14:15], v[171:172], v[14:15]
	v_fma_f64 v[147:148], v[147:148], v[0:1], -v[88:89]
	v_fma_f64 v[149:150], v[149:150], v[0:1], v[2:3]
	v_fma_f64 v[207:208], v[62:63], v[8:9], -v[207:208]
	v_fma_f64 v[229:230], v[64:65], v[8:9], v[10:11]
	ds_read_b128 v[0:3], v90 offset:18720
	s_waitcnt vmcnt(22)
	v_mul_f64 v[211:212], v[117:118], v[18:19]
	v_mul_f64 v[18:19], v[115:116], v[18:19]
	s_waitcnt vmcnt(21) lgkmcnt(4)
	v_mul_f64 v[213:214], v[181:182], v[22:23]
	v_mul_f64 v[22:23], v[179:180], v[22:23]
	s_waitcnt vmcnt(17)
	v_mul_f64 v[221:222], v[60:61], v[38:39]
	v_mul_f64 v[38:39], v[58:59], v[38:39]
	v_fma_f64 v[227:228], v[56:57], v[4:5], v[6:7]
	ds_read_b128 v[4:7], v90 offset:20160
	s_waitcnt vmcnt(15)
	v_mul_f64 v[8:9], v[78:79], v[52:53]
	v_mul_f64 v[10:11], v[76:77], v[52:53]
	v_fma_f64 v[171:172], v[171:172], v[12:13], -v[209:210]
	v_fma_f64 v[173:174], v[173:174], v[12:13], v[14:15]
	s_waitcnt vmcnt(14) lgkmcnt(1)
	v_mul_f64 v[12:13], v[2:3], v[68:69]
	v_mul_f64 v[14:15], v[0:1], v[68:69]
	v_mul_f64 v[215:216], v[125:126], v[26:27]
	v_mul_f64 v[26:27], v[123:124], v[26:27]
	v_fma_f64 v[64:65], v[76:77], v[50:51], -v[8:9]
	v_fma_f64 v[78:79], v[78:79], v[50:51], v[10:11]
	ds_read_b128 v[8:11], v90 offset:27360
	v_fma_f64 v[115:116], v[115:116], v[16:17], -v[211:212]
	v_fma_f64 v[117:118], v[117:118], v[16:17], v[18:19]
	v_fma_f64 v[179:180], v[179:180], v[20:21], -v[213:214]
	v_fma_f64 v[181:182], v[181:182], v[20:21], v[22:23]
	;; [unrolled: 2-line block ×3, first 2 shown]
	s_waitcnt vmcnt(13)
	v_mul_f64 v[16:17], v[121:122], v[72:73]
	v_fma_f64 v[58:59], v[0:1], v[66:67], -v[12:13]
	v_fma_f64 v[60:61], v[2:3], v[66:67], v[14:15]
	ds_read_b128 v[0:3], v90 offset:28800
	s_waitcnt vmcnt(12) lgkmcnt(1)
	v_mul_f64 v[20:21], v[10:11], v[82:83]
	v_mul_f64 v[22:23], v[8:9], v[82:83]
	ds_read_b128 v[12:15], v90 offset:36000
	ds_read_b128 v[50:53], v90 offset:37440
	v_fma_f64 v[123:124], v[123:124], v[24:25], -v[215:216]
	v_fma_f64 v[125:126], v[125:126], v[24:25], v[26:27]
	v_mul_f64 v[18:19], v[119:120], v[72:73]
	v_fma_f64 v[76:77], v[119:120], v[70:71], -v[16:17]
	s_waitcnt vmcnt(11)
	v_mul_f64 v[16:17], v[129:130], v[86:87]
	v_mul_f64 v[24:25], v[127:128], v[86:87]
	s_waitcnt vmcnt(10) lgkmcnt(1)
	v_mul_f64 v[26:27], v[14:15], v[101:102]
	v_fma_f64 v[68:69], v[8:9], v[80:81], -v[20:21]
	v_fma_f64 v[66:67], v[10:11], v[80:81], v[22:23]
	v_mul_f64 v[8:9], v[12:13], v[101:102]
	s_waitcnt vmcnt(9)
	v_mul_f64 v[10:11], v[145:146], v[105:106]
	v_fma_f64 v[82:83], v[121:122], v[70:71], v[18:19]
	v_fma_f64 v[80:81], v[127:128], v[84:85], -v[16:17]
	v_fma_f64 v[86:87], v[129:130], v[84:85], v[24:25]
	v_fma_f64 v[70:71], v[12:13], v[99:100], -v[26:27]
	v_mul_f64 v[12:13], v[143:144], v[105:106]
	s_waitcnt vmcnt(8)
	v_mul_f64 v[16:17], v[153:154], v[109:110]
	v_mul_f64 v[18:19], v[151:152], v[109:110]
	v_fma_f64 v[72:73], v[14:15], v[99:100], v[8:9]
	v_fma_f64 v[84:85], v[143:144], v[103:104], -v[10:11]
	s_waitcnt vmcnt(7)
	v_mul_f64 v[8:9], v[169:170], v[113:114]
	v_mul_f64 v[10:11], v[167:168], v[113:114]
	;; [unrolled: 1-line block ×6, first 2 shown]
	v_fma_f64 v[88:89], v[145:146], v[103:104], v[12:13]
	v_fma_f64 v[20:21], v[151:152], v[107:108], -v[16:17]
	v_fma_f64 v[24:25], v[153:154], v[107:108], v[18:19]
	s_waitcnt vmcnt(6)
	v_mul_f64 v[16:17], v[175:176], v[133:134]
	s_waitcnt vmcnt(5)
	v_mul_f64 v[18:19], v[6:7], v[137:138]
	v_fma_f64 v[14:15], v[167:168], v[111:112], -v[8:9]
	v_fma_f64 v[12:13], v[169:170], v[111:112], v[10:11]
	v_mul_f64 v[8:9], v[4:5], v[137:138]
	s_waitcnt vmcnt(4)
	v_mul_f64 v[10:11], v[185:186], v[157:158]
	v_mul_f64 v[223:224], v[165:166], v[42:43]
	;; [unrolled: 1-line block ×3, first 2 shown]
	v_fma_f64 v[187:188], v[187:188], v[28:29], -v[217:218]
	v_fma_f64 v[189:190], v[189:190], v[28:29], v[30:31]
	v_fma_f64 v[139:140], v[139:140], v[32:33], -v[219:220]
	v_fma_f64 v[141:142], v[141:142], v[32:33], v[34:35]
	v_mul_f64 v[28:29], v[183:184], v[157:158]
	s_waitcnt vmcnt(3)
	v_mul_f64 v[32:33], v[2:3], v[161:162]
	v_mul_f64 v[36:37], v[0:1], v[161:162]
	s_waitcnt vmcnt(2)
	v_mul_f64 v[38:39], v[193:194], v[197:198]
	v_fma_f64 v[26:27], v[177:178], v[131:132], v[16:17]
	v_fma_f64 v[16:17], v[4:5], v[135:136], -v[18:19]
	v_fma_f64 v[18:19], v[6:7], v[135:136], v[8:9]
	v_fma_f64 v[34:35], v[183:184], v[155:156], -v[10:11]
	ds_read_b128 v[4:7], v90 offset:41760
	ds_read_b128 v[8:11], v90
	v_fma_f64 v[54:55], v[163:164], v[40:41], -v[223:224]
	v_fma_f64 v[56:57], v[165:166], v[40:41], v[42:43]
	v_fma_f64 v[30:31], v[185:186], v[155:156], v[28:29]
	v_fma_f64 v[32:33], v[0:1], v[159:160], -v[32:33]
	v_fma_f64 v[28:29], v[2:3], v[159:160], v[36:37]
	v_fma_f64 v[36:37], v[191:192], v[195:196], -v[38:39]
	v_mul_f64 v[0:1], v[191:192], v[197:198]
	s_waitcnt lgkmcnt(0)
	v_add_f64 v[2:3], v[8:9], v[147:148]
	v_add_f64 v[38:39], v[225:226], v[207:208]
	;; [unrolled: 1-line block ×4, first 2 shown]
	s_waitcnt vmcnt(1)
	v_mul_f64 v[101:102], v[52:53], v[201:202]
	v_mul_f64 v[103:104], v[50:51], v[201:202]
	s_waitcnt vmcnt(0)
	v_mul_f64 v[105:106], v[6:7], v[205:206]
	v_fma_f64 v[42:43], v[193:194], v[195:196], v[0:1]
	v_add_f64 v[0:1], v[2:3], v[171:172]
	v_add_f64 v[2:3], v[38:39], v[115:116]
	;; [unrolled: 1-line block ×4, first 2 shown]
	v_fma_f64 v[40:41], v[50:51], v[199:200], -v[101:102]
	v_fma_f64 v[38:39], v[52:53], v[199:200], v[103:104]
	v_add_f64 v[101:102], v[171:172], v[179:180]
	v_add_f64 v[103:104], v[147:148], v[187:188]
	v_fma_f64 v[50:51], v[4:5], v[203:204], -v[105:106]
	v_add_f64 v[0:1], v[0:1], v[179:180]
	v_add_f64 v[2:3], v[2:3], v[123:124]
	;; [unrolled: 1-line block ×6, first 2 shown]
	v_fma_f64 v[119:120], v[101:102], -0.5, v[8:9]
	v_fma_f64 v[121:122], v[103:104], -0.5, v[8:9]
	v_add_f64 v[8:9], v[117:118], v[125:126]
	v_mul_f64 v[4:5], v[4:5], v[205:206]
	v_add_f64 v[109:110], v[0:1], v[187:188]
	v_add_f64 v[111:112], v[2:3], v[139:140]
	v_fma_f64 v[127:128], v[105:106], -0.5, v[10:11]
	v_fma_f64 v[107:108], v[107:108], -0.5, v[10:11]
	v_add_f64 v[10:11], v[115:116], v[123:124]
	v_add_f64 v[113:114], v[52:53], v[189:190]
	;; [unrolled: 1-line block ×3, first 2 shown]
	v_fma_f64 v[8:9], v[8:9], -0.5, v[227:228]
	v_add_f64 v[105:106], v[207:208], -v[139:140]
	v_mul_f64 v[22:23], v[177:178], v[133:134]
	v_fma_f64 v[52:53], v[6:7], v[203:204], v[4:5]
	v_add_f64 v[0:1], v[109:110], v[111:112]
	v_add_f64 v[4:5], v[109:110], -v[111:112]
	v_fma_f64 v[10:11], v[10:11], -0.5, v[225:226]
	v_add_f64 v[109:110], v[229:230], -v[141:142]
	v_add_f64 v[2:3], v[113:114], v[99:100]
	v_add_f64 v[6:7], v[113:114], -v[99:100]
	v_add_f64 v[99:100], v[207:208], -v[115:116]
	;; [unrolled: 1-line block ×5, first 2 shown]
	v_fma_f64 v[113:114], v[105:106], s[14:15], v[8:9]
	v_add_f64 v[129:130], v[115:116], -v[123:124]
	v_fma_f64 v[22:23], v[175:176], v[131:132], -v[22:23]
	v_fma_f64 v[131:132], v[109:110], s[8:9], v[10:11]
	v_add_f64 v[133:134], v[117:118], -v[125:126]
	v_add_f64 v[135:136], v[99:100], v[101:102]
	v_add_f64 v[143:144], v[229:230], v[141:142]
	;; [unrolled: 1-line block ×4, first 2 shown]
	v_fma_f64 v[99:100], v[129:130], s[18:19], v[113:114]
	v_add_f64 v[103:104], v[147:148], -v[171:172]
	v_add_f64 v[113:114], v[187:188], -v[179:180]
	v_fma_f64 v[101:102], v[133:134], s[16:17], v[131:132]
	v_add_f64 v[153:154], v[147:148], -v[187:188]
	v_fma_f64 v[143:144], v[143:144], -0.5, v[227:228]
	v_add_f64 v[131:132], v[149:150], -v[173:174]
	v_fma_f64 v[145:146], v[145:146], -0.5, v[225:226]
	v_fma_f64 v[99:100], v[111:112], s[20:21], v[99:100]
	v_add_f64 v[137:138], v[189:190], -v[181:182]
	v_add_f64 v[151:152], v[149:150], -v[189:190]
	v_fma_f64 v[101:102], v[135:136], s[20:21], v[101:102]
	v_add_f64 v[113:114], v[103:104], v[113:114]
	v_add_f64 v[115:116], v[115:116], -v[207:208]
	v_add_f64 v[123:124], v[123:124], -v[139:140]
	;; [unrolled: 1-line block ×3, first 2 shown]
	v_mul_f64 v[103:104], v[99:100], s[16:17]
	v_add_f64 v[125:126], v[125:126], -v[141:142]
	v_fma_f64 v[139:140], v[129:130], s[8:9], v[143:144]
	v_fma_f64 v[141:142], v[133:134], s[14:15], v[145:146]
	;; [unrolled: 1-line block ×3, first 2 shown]
	v_add_f64 v[161:162], v[171:172], -v[179:180]
	v_add_f64 v[131:132], v[131:132], v[137:138]
	v_mul_f64 v[137:138], v[101:102], s[18:19]
	v_fma_f64 v[155:156], v[151:152], s[8:9], v[119:120]
	v_add_f64 v[157:158], v[173:174], -v[181:182]
	v_add_f64 v[115:116], v[115:116], v[123:124]
	v_add_f64 v[117:118], v[117:118], v[125:126]
	v_fma_f64 v[123:124], v[105:106], s[18:19], v[139:140]
	v_fma_f64 v[125:126], v[109:110], s[16:17], v[141:142]
	;; [unrolled: 1-line block ×4, first 2 shown]
	v_add_f64 v[139:140], v[171:172], -v[147:148]
	v_add_f64 v[141:142], v[179:180], -v[187:188]
	;; [unrolled: 1-line block ×4, first 2 shown]
	v_fma_f64 v[159:160], v[161:162], s[8:9], v[107:108]
	v_fma_f64 v[137:138], v[99:100], s[22:23], v[137:138]
	;; [unrolled: 1-line block ×5, first 2 shown]
	v_add_f64 v[139:140], v[139:140], v[141:142]
	v_fma_f64 v[145:146], v[133:134], s[8:9], v[145:146]
	v_add_f64 v[141:142], v[147:148], v[149:150]
	v_fma_f64 v[149:150], v[153:154], s[18:19], v[159:160]
	v_fma_f64 v[143:144], v[129:130], s[14:15], v[143:144]
	;; [unrolled: 1-line block ×5, first 2 shown]
	v_add_f64 v[101:102], v[165:166], v[137:138]
	v_add_f64 v[10:11], v[165:166], -v[137:138]
	v_fma_f64 v[109:110], v[109:110], s[18:19], v[145:146]
	v_fma_f64 v[123:124], v[117:118], s[20:21], v[123:124]
	;; [unrolled: 1-line block ×9, first 2 shown]
	v_mul_f64 v[167:168], v[123:124], s[8:9]
	v_fma_f64 v[115:116], v[117:118], s[20:21], v[137:138]
	v_fma_f64 v[117:118], v[151:152], s[14:15], v[119:120]
	;; [unrolled: 1-line block ×6, first 2 shown]
	v_mul_f64 v[129:130], v[109:110], s[20:21]
	v_mul_f64 v[169:170], v[125:126], s[14:15]
	v_fma_f64 v[107:108], v[153:154], s[16:17], v[107:108]
	v_mul_f64 v[133:134], v[115:116], s[20:21]
	v_fma_f64 v[119:120], v[161:162], s[16:17], v[119:120]
	;; [unrolled: 2-line block ×4, first 2 shown]
	v_fma_f64 v[125:126], v[125:126], s[20:21], v[167:168]
	v_fma_f64 v[147:148], v[139:140], s[20:21], v[147:148]
	;; [unrolled: 1-line block ×3, first 2 shown]
	v_fma_f64 v[115:116], v[115:116], s[8:9], -v[129:130]
	v_fma_f64 v[131:132], v[131:132], s[20:21], v[119:120]
	v_fma_f64 v[127:128], v[127:128], s[18:19], -v[137:138]
	v_fma_f64 v[123:124], v[123:124], s[20:21], v[169:170]
	v_fma_f64 v[149:150], v[141:142], s[20:21], v[149:150]
	;; [unrolled: 1-line block ×3, first 2 shown]
	v_fma_f64 v[129:130], v[109:110], s[14:15], -v[133:134]
	v_fma_f64 v[133:134], v[113:114], s[20:21], v[117:118]
	v_fma_f64 v[135:136], v[111:112], s[16:17], -v[135:136]
	v_add_f64 v[99:100], v[163:164], v[103:104]
	v_add_f64 v[8:9], v[163:164], -v[103:104]
	v_add_f64 v[103:104], v[147:148], v[125:126]
	v_add_f64 v[107:108], v[147:148], -v[125:126]
	;; [unrolled: 2-line block ×4, first 2 shown]
	v_mul_u32_u24_e32 v127, 0x1e0, v93
	v_mov_b32_e32 v93, 4
	v_lshlrev_b32_sdwa v96, v93, v96 dst_sel:DWORD dst_unused:UNUSED_PAD src0_sel:DWORD src1_sel:BYTE_0
	v_add_f64 v[105:106], v[149:150], v[123:124]
	v_add_f64 v[109:110], v[149:150], -v[123:124]
	v_add_f64 v[113:114], v[139:140], v[129:130]
	v_add_f64 v[117:118], v[139:140], -v[129:130]
	;; [unrolled: 2-line block ×3, first 2 shown]
	v_add3_u32 v96, 0, v127, v96
	ds_read_b128 v[127:130], v90 offset:1440
	ds_read_b128 v[131:134], v90 offset:2880
	s_waitcnt lgkmcnt(0)
	s_barrier
	ds_write_b128 v96, v[0:3]
	ds_write_b128 v96, v[99:102] offset:48
	v_add_f64 v[0:1], v[127:128], v[54:55]
	v_add_f64 v[2:3], v[129:130], v[56:57]
	ds_write_b128 v96, v[103:106] offset:96
	ds_write_b128 v96, v[111:114] offset:144
	;; [unrolled: 1-line block ×8, first 2 shown]
	v_add_f64 v[8:9], v[82:83], v[86:87]
	v_add_f64 v[101:102], v[74:75], v[78:79]
	v_add_f64 v[111:112], v[64:65], -v[84:85]
	v_add_f64 v[10:11], v[58:59], v[68:69]
	v_add_f64 v[0:1], v[0:1], v[58:59]
	v_add_f64 v[2:3], v[2:3], v[60:61]
	v_add_f64 v[103:104], v[56:57], v[72:73]
	v_add_f64 v[117:118], v[78:79], -v[88:89]
	v_fma_f64 v[109:110], v[8:9], -0.5, v[74:75]
	v_add_f64 v[6:7], v[101:102], v[82:83]
	v_add_f64 v[101:102], v[60:61], v[66:67]
	v_add_f64 v[8:9], v[88:89], -v[86:87]
	v_add_f64 v[0:1], v[0:1], v[68:69]
	v_add_f64 v[2:3], v[2:3], v[66:67]
	v_add_f64 v[119:120], v[76:77], -v[80:81]
	v_fma_f64 v[113:114], v[10:11], -0.5, v[127:128]
	v_add_f64 v[10:11], v[64:65], -v[76:77]
	v_add_f64 v[121:122], v[84:85], -v[80:81]
	v_fma_f64 v[101:102], v[101:102], -0.5, v[129:130]
	v_add_f64 v[125:126], v[82:83], -v[86:87]
	v_add_f64 v[105:106], v[0:1], v[70:71]
	v_add_f64 v[0:1], v[76:77], v[80:81]
	;; [unrolled: 1-line block ×3, first 2 shown]
	v_add_f64 v[2:3], v[78:79], -v[82:83]
	v_fma_f64 v[103:104], v[103:104], -0.5, v[129:130]
	v_add_f64 v[129:130], v[56:57], -v[60:61]
	v_add_f64 v[137:138], v[72:73], -v[66:67]
	v_add_f64 v[141:142], v[78:79], v[88:89]
	v_add_f64 v[99:100], v[62:63], v[64:65]
	v_fma_f64 v[115:116], v[0:1], -0.5, v[62:63]
	v_fma_f64 v[0:1], v[111:112], s[14:15], v[109:110]
	v_add_f64 v[123:124], v[2:3], v[8:9]
	v_add_f64 v[121:122], v[10:11], v[121:122]
	;; [unrolled: 1-line block ×5, first 2 shown]
	v_fma_f64 v[74:75], v[141:142], -0.5, v[74:75]
	v_fma_f64 v[2:3], v[117:118], s[8:9], v[115:116]
	v_fma_f64 v[8:9], v[119:120], s[18:19], v[0:1]
	v_add_f64 v[4:5], v[99:100], v[76:77]
	v_add_f64 v[99:100], v[54:55], v[70:71]
	v_add_f64 v[139:140], v[56:57], -v[72:73]
	v_add_f64 v[78:79], v[82:83], -v[78:79]
	v_fma_f64 v[62:63], v[137:138], -0.5, v[62:63]
	v_add_f64 v[82:83], v[86:87], -v[88:89]
	v_fma_f64 v[10:11], v[125:126], s[16:17], v[2:3]
	v_fma_f64 v[8:9], v[123:124], s[20:21], v[8:9]
	;; [unrolled: 1-line block ×3, first 2 shown]
	v_add_f64 v[4:5], v[4:5], v[80:81]
	v_fma_f64 v[99:100], v[99:100], -0.5, v[127:128]
	v_add_f64 v[127:128], v[54:55], -v[58:59]
	v_add_f64 v[135:136], v[70:71], -v[68:69]
	v_fma_f64 v[145:146], v[139:140], s[8:9], v[113:114]
	v_fma_f64 v[10:11], v[121:122], s[20:21], v[10:11]
	v_mul_f64 v[143:144], v[8:9], s[16:17]
	v_add_f64 v[141:142], v[60:61], -v[66:67]
	v_add_f64 v[64:65], v[76:77], -v[64:65]
	;; [unrolled: 1-line block ×3, first 2 shown]
	v_fma_f64 v[80:81], v[125:126], s[14:15], v[62:63]
	v_add_f64 v[78:79], v[78:79], v[82:83]
	v_fma_f64 v[82:83], v[111:112], s[18:19], v[86:87]
	v_add_f64 v[6:7], v[6:7], v[88:89]
	v_fma_f64 v[143:144], v[10:11], s[22:23], v[143:144]
	v_mul_f64 v[10:11], v[10:11], s[18:19]
	v_add_f64 v[127:128], v[127:128], v[135:136]
	v_add_f64 v[135:136], v[54:55], -v[70:71]
	v_fma_f64 v[88:89], v[141:142], s[16:17], v[145:146]
	v_add_f64 v[64:65], v[64:65], v[76:77]
	v_add_f64 v[4:5], v[4:5], v[84:85]
	v_add_f64 v[149:150], v[58:59], -v[68:69]
	v_add_f64 v[58:59], v[58:59], -v[54:55]
	v_fma_f64 v[86:87], v[8:9], s[22:23], v[10:11]
	v_fma_f64 v[10:11], v[117:118], s[16:17], v[80:81]
	;; [unrolled: 1-line block ×5, first 2 shown]
	v_add_f64 v[68:69], v[68:69], -v[70:71]
	v_add_f64 v[56:57], v[60:61], -v[56:57]
	;; [unrolled: 1-line block ×3, first 2 shown]
	v_fma_f64 v[70:71], v[141:142], s[14:15], v[99:100]
	v_fma_f64 v[66:67], v[64:65], s[20:21], v[10:11]
	v_mul_f64 v[72:73], v[80:81], s[8:9]
	v_fma_f64 v[62:63], v[125:126], s[8:9], v[62:63]
	v_fma_f64 v[137:138], v[149:150], s[18:19], v[147:148]
	v_add_f64 v[8:9], v[84:85], v[143:144]
	v_add_f64 v[54:55], v[84:85], -v[143:144]
	v_add_f64 v[68:69], v[58:59], v[68:69]
	v_add_f64 v[84:85], v[56:57], v[60:61]
	v_fma_f64 v[56:57], v[139:140], s[16:17], v[70:71]
	v_fma_f64 v[70:71], v[66:67], s[20:21], v[72:73]
	v_mul_f64 v[58:59], v[66:67], s[14:15]
	v_fma_f64 v[66:67], v[119:120], s[14:15], v[74:75]
	v_fma_f64 v[62:63], v[117:118], s[18:19], v[62:63]
	;; [unrolled: 1-line block ×7, first 2 shown]
	v_add_f64 v[0:1], v[105:106], v[4:5]
	v_fma_f64 v[66:67], v[111:112], s[16:17], v[66:67]
	v_fma_f64 v[62:63], v[64:65], s[20:21], v[62:63]
	;; [unrolled: 1-line block ×4, first 2 shown]
	v_add_f64 v[10:11], v[76:77], v[86:87]
	v_fma_f64 v[60:61], v[135:136], s[18:19], v[82:83]
	v_fma_f64 v[82:83], v[68:69], s[20:21], v[56:57]
	v_add_f64 v[56:57], v[76:77], -v[86:87]
	v_fma_f64 v[74:75], v[141:142], s[8:9], v[99:100]
	v_fma_f64 v[86:87], v[149:150], s[14:15], v[103:104]
	;; [unrolled: 1-line block ×6, first 2 shown]
	v_mul_f64 v[99:100], v[62:63], s[20:21]
	v_add_f64 v[4:5], v[105:106], -v[4:5]
	v_fma_f64 v[74:75], v[139:140], s[18:19], v[74:75]
	v_fma_f64 v[86:87], v[135:136], s[16:17], v[86:87]
	v_mul_f64 v[101:102], v[66:67], s[20:21]
	v_fma_f64 v[78:79], v[141:142], s[18:19], v[78:79]
	v_fma_f64 v[88:89], v[149:150], s[16:17], v[88:89]
	v_mul_f64 v[103:104], v[64:65], s[22:23]
	v_mul_f64 v[105:106], v[72:73], s[22:23]
	v_fma_f64 v[76:77], v[80:81], s[20:21], v[58:59]
	v_fma_f64 v[80:81], v[84:85], s[20:21], v[60:61]
	;; [unrolled: 1-line block ×4, first 2 shown]
	v_fma_f64 v[86:87], v[66:67], s[8:9], -v[99:100]
	v_fma_f64 v[99:100], v[62:63], s[14:15], -v[101:102]
	v_fma_f64 v[78:79], v[127:128], s[20:21], v[78:79]
	v_fma_f64 v[88:89], v[129:130], s[20:21], v[88:89]
	v_fma_f64 v[101:102], v[72:73], s[16:17], -v[103:104]
	v_fma_f64 v[103:104], v[64:65], s[18:19], -v[105:106]
	v_add_f64 v[2:3], v[107:108], v[6:7]
	v_add_f64 v[58:59], v[82:83], v[70:71]
	v_add_f64 v[60:61], v[80:81], v[76:77]
	v_add_f64 v[66:67], v[74:75], v[86:87]
	v_add_f64 v[68:69], v[84:85], v[99:100]
	v_add_f64 v[62:63], v[82:83], -v[70:71]
	v_add_f64 v[64:65], v[80:81], -v[76:77]
	;; [unrolled: 1-line block ×3, first 2 shown]
	v_add_f64 v[74:75], v[78:79], v[101:102]
	v_add_f64 v[76:77], v[88:89], v[103:104]
	v_add_f64 v[6:7], v[107:108], -v[6:7]
	v_mul_u32_u24_e32 v82, 0x1e0, v97
	v_lshlrev_b32_sdwa v83, v93, v98 dst_sel:DWORD dst_unused:UNUSED_PAD src0_sel:DWORD src1_sel:BYTE_0
	v_add3_u32 v82, 0, v82, v83
	ds_write_b128 v82, v[0:3]
	ds_write_b128 v82, v[8:11] offset:48
	ds_write_b128 v82, v[58:61] offset:96
	;; [unrolled: 1-line block ×5, first 2 shown]
	v_add_f64 v[4:5], v[14:15], v[40:41]
	v_add_f64 v[8:9], v[20:21], v[22:23]
	;; [unrolled: 1-line block ×3, first 2 shown]
	ds_write_b128 v82, v[54:57] offset:288
	ds_write_b128 v82, v[62:65] offset:336
	v_add_f64 v[2:3], v[16:17], v[32:33]
	v_add_f64 v[6:7], v[133:134], v[12:13]
	;; [unrolled: 1-line block ×3, first 2 shown]
	v_add_f64 v[72:73], v[84:85], -v[99:100]
	v_fma_f64 v[56:57], v[4:5], -0.5, v[131:132]
	v_add_f64 v[4:5], v[8:9], v[34:35]
	v_add_f64 v[8:9], v[30:31], v[42:43]
	;; [unrolled: 1-line block ×4, first 2 shown]
	v_fma_f64 v[54:55], v[2:3], -0.5, v[131:132]
	v_add_f64 v[2:3], v[6:7], v[18:19]
	v_add_f64 v[66:67], v[22:23], -v[50:51]
	v_fma_f64 v[58:59], v[58:59], -0.5, v[20:21]
	v_add_f64 v[68:69], v[26:27], -v[52:53]
	v_fma_f64 v[64:65], v[8:9], -0.5, v[24:25]
	v_add_f64 v[78:79], v[78:79], -v[101:102]
	v_add_f64 v[80:81], v[88:89], -v[103:104]
	v_add_f64 v[96:97], v[26:27], v[52:53]
	ds_write_b128 v82, v[70:73] offset:384
	ds_write_b128 v82, v[78:81] offset:432
	v_add_f64 v[6:7], v[10:11], v[30:31]
	v_add_f64 v[0:1], v[0:1], v[32:33]
	;; [unrolled: 1-line block ×5, first 2 shown]
	v_add_f64 v[70:71], v[26:27], -v[30:31]
	v_add_f64 v[72:73], v[52:53], -v[42:43]
	v_fma_f64 v[74:75], v[66:67], s[14:15], v[64:65]
	v_add_f64 v[76:77], v[34:35], -v[36:37]
	v_fma_f64 v[78:79], v[68:69], s[8:9], v[58:59]
	v_add_f64 v[80:81], v[30:31], -v[42:43]
	v_add_f64 v[98:99], v[22:23], v[50:51]
	v_fma_f64 v[24:25], v[96:97], -0.5, v[24:25]
	v_add_f64 v[6:7], v[6:7], v[42:43]
	v_add_f64 v[62:63], v[0:1], v[40:41]
	;; [unrolled: 1-line block ×3, first 2 shown]
	v_add_f64 v[0:1], v[22:23], -v[34:35]
	v_add_f64 v[2:3], v[50:51], -v[36:37]
	v_add_f64 v[4:5], v[4:5], v[50:51]
	v_fma_f64 v[82:83], v[10:11], -0.5, v[133:134]
	v_add_f64 v[70:71], v[70:71], v[72:73]
	v_fma_f64 v[10:11], v[76:77], s[18:19], v[74:75]
	v_fma_f64 v[72:73], v[80:81], s[16:17], v[78:79]
	v_add_f64 v[74:75], v[14:15], -v[16:17]
	v_add_f64 v[78:79], v[40:41], -v[32:33]
	;; [unrolled: 1-line block ×4, first 2 shown]
	v_fma_f64 v[20:21], v[98:99], -0.5, v[20:21]
	v_add_f64 v[22:23], v[34:35], -v[22:23]
	v_add_f64 v[34:35], v[36:37], -v[50:51]
	;; [unrolled: 1-line block ×4, first 2 shown]
	v_fma_f64 v[36:37], v[76:77], s[8:9], v[24:25]
	v_add_f64 v[6:7], v[6:7], v[52:53]
	v_add_f64 v[84:85], v[0:1], v[2:3]
	;; [unrolled: 1-line block ×3, first 2 shown]
	v_fma_f64 v[10:11], v[70:71], s[20:21], v[10:11]
	v_add_f64 v[4:5], v[62:63], -v[4:5]
	v_add_f64 v[62:63], v[74:75], v[78:79]
	v_add_f64 v[74:75], v[86:87], v[88:89]
	v_add_f64 v[86:87], v[12:13], -v[38:39]
	v_add_f64 v[60:61], v[12:13], v[38:39]
	v_fma_f64 v[42:43], v[80:81], s[14:15], v[20:21]
	v_add_f64 v[26:27], v[26:27], v[30:31]
	v_fma_f64 v[30:31], v[66:67], s[18:19], v[36:37]
	v_add_f64 v[2:3], v[8:9], v[6:7]
	v_fma_f64 v[72:73], v[84:85], s[20:21], v[72:73]
	v_add_f64 v[6:7], v[8:9], -v[6:7]
	v_mul_f64 v[8:9], v[10:11], s[16:17]
	v_add_f64 v[88:89], v[14:15], -v[40:41]
	v_fma_f64 v[50:51], v[86:87], s[8:9], v[54:55]
	v_add_f64 v[52:53], v[18:19], -v[28:29]
	v_fma_f64 v[60:61], v[60:61], -0.5, v[133:134]
	v_add_f64 v[98:99], v[16:17], -v[32:33]
	v_add_f64 v[22:23], v[22:23], v[34:35]
	v_fma_f64 v[34:35], v[68:69], s[16:17], v[42:43]
	v_fma_f64 v[30:31], v[26:27], s[20:21], v[30:31]
	v_mul_f64 v[78:79], v[72:73], s[18:19]
	v_fma_f64 v[96:97], v[88:89], s[14:15], v[82:83]
	v_fma_f64 v[36:37], v[72:73], s[22:23], v[8:9]
	;; [unrolled: 1-line block ×3, first 2 shown]
	v_add_f64 v[14:15], v[16:17], -v[14:15]
	v_add_f64 v[16:17], v[32:33], -v[40:41]
	;; [unrolled: 1-line block ×4, first 2 shown]
	v_fma_f64 v[28:29], v[52:53], s[14:15], v[56:57]
	v_fma_f64 v[32:33], v[22:23], s[20:21], v[34:35]
	;; [unrolled: 1-line block ×3, first 2 shown]
	v_mul_f64 v[50:51], v[30:31], s[8:9]
	v_fma_f64 v[42:43], v[10:11], s[22:23], v[78:79]
	v_fma_f64 v[10:11], v[98:99], s[18:19], v[96:97]
	;; [unrolled: 1-line block ×3, first 2 shown]
	v_add_f64 v[78:79], v[14:15], v[16:17]
	v_add_f64 v[96:97], v[12:13], v[18:19]
	v_fma_f64 v[12:13], v[86:87], s[16:17], v[28:29]
	v_fma_f64 v[16:17], v[80:81], s[8:9], v[20:21]
	;; [unrolled: 1-line block ×3, first 2 shown]
	v_mul_f64 v[72:73], v[32:33], s[14:15]
	v_fma_f64 v[14:15], v[88:89], s[18:19], v[34:35]
	v_fma_f64 v[28:29], v[32:33], s[20:21], v[50:51]
	;; [unrolled: 1-line block ×5, first 2 shown]
	v_add_f64 v[8:9], v[38:39], v[36:37]
	v_fma_f64 v[20:21], v[78:79], s[20:21], v[12:13]
	v_add_f64 v[12:13], v[38:39], -v[36:37]
	v_fma_f64 v[36:37], v[68:69], s[18:19], v[16:17]
	v_fma_f64 v[38:39], v[66:67], s[16:17], v[18:19]
	;; [unrolled: 1-line block ×4, first 2 shown]
	v_add_f64 v[10:11], v[40:41], v[42:43]
	v_fma_f64 v[24:25], v[96:97], s[20:21], v[14:15]
	v_add_f64 v[14:15], v[40:41], -v[42:43]
	v_fma_f64 v[40:41], v[52:53], s[8:9], v[56:57]
	v_fma_f64 v[42:43], v[98:99], s[14:15], v[60:61]
	v_fma_f64 v[22:23], v[22:23], s[20:21], v[36:37]
	v_fma_f64 v[26:27], v[26:27], s[20:21], v[38:39]
	v_fma_f64 v[36:37], v[86:87], s[14:15], v[54:55]
	v_fma_f64 v[38:39], v[88:89], s[8:9], v[82:83]
	v_fma_f64 v[32:33], v[84:85], s[20:21], v[32:33]
	v_fma_f64 v[34:35], v[70:71], s[20:21], v[34:35]
	v_fma_f64 v[40:41], v[86:87], s[18:19], v[40:41]
	v_fma_f64 v[42:43], v[88:89], s[16:17], v[42:43]
	v_mul_f64 v[50:51], v[22:23], s[20:21]
	v_mul_f64 v[54:55], v[26:27], s[20:21]
	v_fma_f64 v[36:37], v[52:53], s[18:19], v[36:37]
	v_fma_f64 v[38:39], v[98:99], s[16:17], v[38:39]
	v_mul_f64 v[52:53], v[32:33], s[22:23]
	v_mul_f64 v[56:57], v[34:35], s[22:23]
	v_fma_f64 v[30:31], v[30:31], s[20:21], v[72:73]
	v_fma_f64 v[40:41], v[78:79], s[20:21], v[40:41]
	;; [unrolled: 1-line block ×3, first 2 shown]
	v_fma_f64 v[50:51], v[26:27], s[8:9], -v[50:51]
	v_fma_f64 v[54:55], v[22:23], s[14:15], -v[54:55]
	v_fma_f64 v[36:37], v[62:63], s[20:21], v[36:37]
	v_fma_f64 v[38:39], v[74:75], s[20:21], v[38:39]
	v_fma_f64 v[52:53], v[34:35], s[16:17], -v[52:53]
	v_fma_f64 v[56:57], v[32:33], s[18:19], -v[56:57]
	v_add_f64 v[16:17], v[20:21], v[28:29]
	v_add_f64 v[18:19], v[24:25], v[30:31]
	v_add_f64 v[22:23], v[24:25], -v[30:31]
	v_add_f64 v[24:25], v[40:41], v[50:51]
	v_add_f64 v[26:27], v[42:43], v[54:55]
	v_add_f64 v[20:21], v[20:21], -v[28:29]
	v_add_f64 v[32:33], v[36:37], v[52:53]
	v_add_f64 v[34:35], v[38:39], v[56:57]
	v_add_f64 v[28:29], v[40:41], -v[50:51]
	v_mul_u32_u24_e32 v40, 0x1e0, v94
	v_lshlrev_b32_e32 v41, 4, v95
	v_add3_u32 v40, 0, v40, v41
	v_add_f64 v[30:31], v[42:43], -v[54:55]
	v_add_f64 v[36:37], v[36:37], -v[52:53]
	;; [unrolled: 1-line block ×3, first 2 shown]
	ds_write_b128 v40, v[0:3]
	ds_write_b128 v40, v[8:11] offset:48
	ds_write_b128 v40, v[16:19] offset:96
	;; [unrolled: 1-line block ×9, first 2 shown]
	v_mul_lo_u16_sdwa v0, v44, s26 dst_sel:DWORD dst_unused:UNUSED_PAD src0_sel:BYTE_0 src1_sel:DWORD
	v_lshrrev_b16_e32 v97, 12, v0
	v_mul_lo_u16_e32 v0, 30, v97
	v_sub_u16_e32 v98, v44, v0
	v_mul_u32_u24_sdwa v0, v98, v92 dst_sel:DWORD dst_unused:UNUSED_PAD src0_sel:BYTE_0 src1_sel:DWORD
	v_lshlrev_b32_e32 v8, 4, v0
	s_waitcnt lgkmcnt(0)
	s_barrier
	global_load_dwordx4 v[0:3], v8, s[12:13] offset:432
	global_load_dwordx4 v[4:7], v8, s[12:13] offset:448
	;; [unrolled: 1-line block ×8, first 2 shown]
	v_mul_lo_u16_sdwa v9, v45, s26 dst_sel:DWORD dst_unused:UNUSED_PAD src0_sel:BYTE_0 src1_sel:DWORD
	v_lshrrev_b16_e32 v94, 12, v9
	global_load_dwordx4 v[36:39], v8, s[12:13] offset:560
	v_mul_lo_u16_e32 v8, 30, v94
	v_sub_u16_e32 v95, v45, v8
	v_mul_u32_u24_sdwa v8, v95, v92 dst_sel:DWORD dst_unused:UNUSED_PAD src0_sel:BYTE_0 src1_sel:DWORD
	v_lshlrev_b32_e32 v92, 4, v8
	global_load_dwordx4 v[40:43], v92, s[12:13] offset:432
	global_load_dwordx4 v[56:59], v92, s[12:13] offset:448
	ds_read_b128 v[50:53], v90 offset:4320
	ds_read_b128 v[60:63], v90 offset:8640
	;; [unrolled: 1-line block ×4, first 2 shown]
	global_load_dwordx4 v[72:75], v92, s[12:13] offset:464
	global_load_dwordx4 v[76:79], v92, s[12:13] offset:480
	;; [unrolled: 1-line block ×3, first 2 shown]
	s_mov_b32 s26, 0x8889
	v_mul_u32_u24_e32 v97, 0x12c0, v97
	v_lshlrev_b32_sdwa v98, v93, v98 dst_sel:DWORD dst_unused:UNUSED_PAD src0_sel:DWORD src1_sel:BYTE_0
	s_waitcnt vmcnt(13) lgkmcnt(3)
	v_mul_f64 v[8:9], v[52:53], v[2:3]
	v_mul_f64 v[2:3], v[50:51], v[2:3]
	s_waitcnt vmcnt(12) lgkmcnt(2)
	v_mul_f64 v[54:55], v[62:63], v[6:7]
	v_mul_f64 v[6:7], v[60:61], v[6:7]
	v_fma_f64 v[10:11], v[50:51], v[0:1], -v[8:9]
	v_fma_f64 v[155:156], v[52:53], v[0:1], v[2:3]
	ds_read_b128 v[0:3], v90 offset:12960
	ds_read_b128 v[50:53], v90 offset:17280
	;; [unrolled: 1-line block ×3, first 2 shown]
	global_load_dwordx4 v[84:87], v92, s[12:13] offset:512
	global_load_dwordx4 v[103:106], v92, s[12:13] offset:528
	ds_read_b128 v[107:110], v90 offset:14400
	ds_read_b128 v[111:114], v90 offset:15840
	;; [unrolled: 1-line block ×3, first 2 shown]
	global_load_dwordx4 v[119:122], v92, s[12:13] offset:544
	global_load_dwordx4 v[123:126], v92, s[12:13] offset:560
	v_mul_u32_u24_sdwa v92, v91, s26 dst_sel:DWORD dst_unused:UNUSED_PAD src0_sel:WORD_0 src1_sel:DWORD
	v_fma_f64 v[8:9], v[60:61], v[4:5], -v[54:55]
	s_waitcnt vmcnt(15) lgkmcnt(5)
	v_mul_f64 v[54:55], v[2:3], v[14:15]
	v_mul_f64 v[14:15], v[0:1], v[14:15]
	v_lshrrev_b32_e32 v92, 20, v92
	v_mul_lo_u16_e32 v96, 30, v92
	v_sub_u16_e32 v96, v91, v96
	v_mul_u32_u24_e32 v127, 9, v96
	v_lshlrev_b32_e32 v183, 4, v127
	s_waitcnt vmcnt(14) lgkmcnt(4)
	v_mul_f64 v[60:61], v[52:53], v[18:19]
	v_mul_f64 v[18:19], v[50:51], v[18:19]
	global_load_dwordx4 v[127:130], v183, s[12:13] offset:432
	global_load_dwordx4 v[135:138], v183, s[12:13] offset:448
	s_waitcnt vmcnt(15) lgkmcnt(3)
	v_mul_f64 v[88:89], v[70:71], v[22:23]
	v_fma_f64 v[159:160], v[0:1], v[12:13], -v[54:55]
	v_mul_f64 v[22:23], v[68:69], v[22:23]
	v_fma_f64 v[161:162], v[2:3], v[12:13], v[14:15]
	global_load_dwordx4 v[0:3], v183, s[12:13] offset:464
	v_fma_f64 v[163:164], v[50:51], v[16:17], -v[60:61]
	v_fma_f64 v[165:166], v[52:53], v[16:17], v[18:19]
	global_load_dwordx4 v[16:19], v183, s[12:13] offset:480
	ds_read_b128 v[131:134], v90 offset:25920
	ds_read_b128 v[12:15], v90 offset:30240
	v_fma_f64 v[167:168], v[68:69], v[20:21], -v[88:89]
	v_fma_f64 v[169:170], v[70:71], v[20:21], v[22:23]
	global_load_dwordx4 v[20:23], v183, s[12:13] offset:496
	global_load_dwordx4 v[139:142], v183, s[12:13] offset:512
	v_fma_f64 v[157:158], v[62:63], v[4:5], v[6:7]
	ds_read_b128 v[4:7], v90 offset:24480
	ds_read_b128 v[60:63], v90 offset:34560
	s_waitcnt vmcnt(18) lgkmcnt(3)
	v_mul_f64 v[54:55], v[133:134], v[26:27]
	v_mul_f64 v[26:27], v[131:132], v[26:27]
	ds_read_b128 v[50:53], v90 offset:31680
	ds_read_b128 v[68:71], v90 offset:38880
	;; [unrolled: 1-line block ×3, first 2 shown]
	global_load_dwordx4 v[147:150], v183, s[12:13] offset:528
	global_load_dwordx4 v[151:154], v183, s[12:13] offset:544
	s_waitcnt vmcnt(18) lgkmcnt(3)
	v_mul_f64 v[88:89], v[62:63], v[34:35]
	v_mul_f64 v[34:35], v[60:61], v[34:35]
	v_fma_f64 v[171:172], v[131:132], v[24:25], -v[54:55]
	v_fma_f64 v[173:174], v[133:134], v[24:25], v[26:27]
	global_load_dwordx4 v[131:134], v183, s[12:13] offset:560
	v_mul_f64 v[54:55], v[14:15], v[30:31]
	v_mul_f64 v[30:31], v[12:13], v[30:31]
	ds_read_b128 v[24:27], v90 offset:40320
	s_waitcnt vmcnt(18) lgkmcnt(2)
	v_mul_f64 v[175:176], v[70:71], v[38:39]
	v_mul_f64 v[38:39], v[68:69], v[38:39]
	v_fma_f64 v[181:182], v[60:61], v[32:33], -v[88:89]
	v_fma_f64 v[183:184], v[62:63], v[32:33], v[34:35]
	ds_read_b128 v[32:35], v90 offset:18720
	v_fma_f64 v[177:178], v[12:13], v[28:29], -v[54:55]
	v_fma_f64 v[179:180], v[14:15], v[28:29], v[30:31]
	ds_read_b128 v[12:15], v90 offset:10080
	s_waitcnt vmcnt(17)
	v_mul_f64 v[54:55], v[66:67], v[42:43]
	v_mul_f64 v[42:43], v[64:65], v[42:43]
	ds_read_b128 v[28:31], v90 offset:11520
	v_fma_f64 v[175:176], v[68:69], v[36:37], -v[175:176]
	s_waitcnt vmcnt(16) lgkmcnt(1)
	v_mul_f64 v[60:61], v[14:15], v[58:59]
	v_mul_f64 v[58:59], v[12:13], v[58:59]
	v_fma_f64 v[185:186], v[70:71], v[36:37], v[38:39]
	ds_read_b128 v[36:39], v90 offset:20160
	v_fma_f64 v[64:65], v[64:65], v[40:41], -v[54:55]
	v_fma_f64 v[70:71], v[66:67], v[40:41], v[42:43]
	s_waitcnt vmcnt(15)
	v_mul_f64 v[66:67], v[107:108], v[74:75]
	v_mul_f64 v[62:63], v[109:110], v[74:75]
	v_fma_f64 v[54:55], v[12:13], v[56:57], -v[60:61]
	v_fma_f64 v[56:57], v[14:15], v[56:57], v[58:59]
	ds_read_b128 v[12:15], v90 offset:27360
	s_waitcnt vmcnt(14)
	v_mul_f64 v[60:61], v[34:35], v[78:79]
	v_mul_f64 v[74:75], v[32:33], v[78:79]
	s_waitcnt vmcnt(13)
	v_mul_f64 v[88:89], v[117:118], v[82:83]
	v_fma_f64 v[78:79], v[109:110], v[72:73], v[66:67]
	v_mul_f64 v[82:83], v[115:116], v[82:83]
	v_fma_f64 v[68:69], v[107:108], v[72:73], -v[62:63]
	ds_read_b128 v[40:43], v90 offset:28800
	s_waitcnt vmcnt(12) lgkmcnt(1)
	v_mul_f64 v[187:188], v[14:15], v[86:87]
	v_mul_f64 v[66:67], v[12:13], v[86:87]
	v_fma_f64 v[58:59], v[32:33], v[76:77], -v[60:61]
	v_fma_f64 v[60:61], v[34:35], v[76:77], v[74:75]
	ds_read_b128 v[32:35], v90 offset:36000
	s_waitcnt vmcnt(11)
	v_mul_f64 v[72:73], v[50:51], v[105:106]
	v_fma_f64 v[74:75], v[115:116], v[80:81], -v[88:89]
	v_fma_f64 v[82:83], v[117:118], v[80:81], v[82:83]
	v_fma_f64 v[62:63], v[12:13], v[84:85], -v[187:188]
	v_mul_f64 v[12:13], v[52:53], v[105:106]
	ds_read_b128 v[105:108], v90 offset:37440
	v_fma_f64 v[66:67], v[14:15], v[84:85], v[66:67]
	s_waitcnt vmcnt(10) lgkmcnt(1)
	v_mul_f64 v[14:15], v[34:35], v[121:122]
	v_mul_f64 v[84:85], v[32:33], v[121:122]
	s_waitcnt vmcnt(9)
	v_mul_f64 v[88:89], v[26:27], v[125:126]
	v_mul_f64 v[109:110], v[24:25], v[125:126]
	v_fma_f64 v[86:87], v[52:53], v[103:104], v[72:73]
	v_fma_f64 v[80:81], v[50:51], v[103:104], -v[12:13]
	s_waitcnt vmcnt(8)
	v_mul_f64 v[50:51], v[99:100], v[129:130]
	v_mul_f64 v[12:13], v[101:102], v[129:130]
	v_fma_f64 v[76:77], v[32:33], v[119:120], -v[14:15]
	v_fma_f64 v[72:73], v[34:35], v[119:120], v[84:85]
	s_waitcnt vmcnt(7)
	v_mul_f64 v[14:15], v[30:31], v[137:138]
	v_mul_f64 v[32:33], v[28:29], v[137:138]
	s_waitcnt vmcnt(6)
	v_mul_f64 v[34:35], v[113:114], v[2:3]
	v_mul_f64 v[2:3], v[111:112], v[2:3]
	v_fma_f64 v[84:85], v[24:25], v[123:124], -v[88:89]
	v_fma_f64 v[88:89], v[26:27], v[123:124], v[109:110]
	v_fma_f64 v[26:27], v[101:102], v[127:128], v[50:51]
	s_waitcnt vmcnt(5)
	v_mul_f64 v[50:51], v[38:39], v[18:19]
	v_mul_f64 v[52:53], v[36:37], v[18:19]
	v_fma_f64 v[24:25], v[99:100], v[127:128], -v[12:13]
	v_fma_f64 v[14:15], v[28:29], v[135:136], -v[14:15]
	v_fma_f64 v[12:13], v[30:31], v[135:136], v[32:33]
	s_waitcnt vmcnt(4)
	v_mul_f64 v[32:33], v[6:7], v[22:23]
	v_mul_f64 v[22:23], v[4:5], v[22:23]
	v_fma_f64 v[30:31], v[111:112], v[0:1], -v[34:35]
	v_fma_f64 v[28:29], v[113:114], v[0:1], v[2:3]
	s_waitcnt vmcnt(3)
	v_mul_f64 v[0:1], v[42:43], v[141:142]
	v_mul_f64 v[2:3], v[40:41], v[141:142]
	;; [unrolled: 5-line block ×3, first 2 shown]
	s_waitcnt vmcnt(1) lgkmcnt(0)
	v_mul_f64 v[50:51], v[107:108], v[153:154]
	v_mul_f64 v[52:53], v[105:106], v[153:154]
	v_fma_f64 v[34:35], v[4:5], v[20:21], -v[32:33]
	v_fma_f64 v[32:33], v[6:7], v[20:21], v[22:23]
	v_fma_f64 v[22:23], v[40:41], v[139:140], -v[0:1]
	v_fma_f64 v[20:21], v[42:43], v[139:140], v[2:3]
	ds_read_b128 v[0:3], v90 offset:41760
	ds_read_b128 v[4:7], v90
	v_fma_f64 v[42:43], v[143:144], v[147:148], -v[36:37]
	v_fma_f64 v[40:41], v[145:146], v[147:148], v[38:39]
	v_fma_f64 v[38:39], v[105:106], v[151:152], -v[50:51]
	v_fma_f64 v[36:37], v[107:108], v[151:152], v[52:53]
	s_waitcnt lgkmcnt(0)
	v_add_f64 v[50:51], v[4:5], v[8:9]
	s_waitcnt vmcnt(0)
	v_mul_f64 v[52:53], v[2:3], v[133:134]
	v_add_f64 v[101:102], v[163:164], v[171:172]
	v_add_f64 v[105:106], v[6:7], v[157:158]
	v_mul_f64 v[99:100], v[0:1], v[133:134]
	v_add_f64 v[103:104], v[8:9], v[181:182]
	v_add_f64 v[109:110], v[155:156], v[161:162]
	v_add_f64 v[117:118], v[161:162], -v[185:186]
	v_add_f64 v[111:112], v[50:51], v[163:164]
	v_fma_f64 v[52:53], v[0:1], v[131:132], -v[52:53]
	v_fma_f64 v[113:114], v[101:102], -0.5, v[4:5]
	v_add_f64 v[0:1], v[105:106], v[165:166]
	v_add_f64 v[101:102], v[169:170], v[179:180]
	v_add_f64 v[105:106], v[167:168], v[177:178]
	v_fma_f64 v[50:51], v[2:3], v[131:132], v[99:100]
	v_fma_f64 v[115:116], v[103:104], -0.5, v[4:5]
	v_add_f64 v[4:5], v[109:110], v[169:170]
	v_add_f64 v[99:100], v[111:112], v[171:172]
	v_add_f64 v[111:112], v[159:160], -v[175:176]
	v_add_f64 v[0:1], v[0:1], v[173:174]
	v_fma_f64 v[109:110], v[101:102], -0.5, v[155:156]
	v_fma_f64 v[105:106], v[105:106], -0.5, v[10:11]
	v_add_f64 v[103:104], v[165:166], v[173:174]
	v_add_f64 v[119:120], v[175:176], -v[177:178]
	v_add_f64 v[121:122], v[161:162], -v[169:170]
	;; [unrolled: 1-line block ×4, first 2 shown]
	v_add_f64 v[101:102], v[0:1], v[183:184]
	v_add_f64 v[0:1], v[159:160], -v[167:168]
	v_fma_f64 v[125:126], v[111:112], s[14:15], v[109:110]
	v_fma_f64 v[129:130], v[117:118], s[8:9], v[105:106]
	v_add_f64 v[131:132], v[169:170], -v[179:180]
	v_fma_f64 v[135:136], v[103:104], -0.5, v[6:7]
	v_add_f64 v[121:122], v[121:122], v[123:124]
	v_add_f64 v[123:124], v[8:9], -v[163:164]
	v_add_f64 v[137:138], v[183:184], -v[173:174]
	v_add_f64 v[119:120], v[0:1], v[119:120]
	v_fma_f64 v[0:1], v[127:128], s[18:19], v[125:126]
	v_add_f64 v[125:126], v[181:182], -v[171:172]
	v_fma_f64 v[103:104], v[131:132], s[16:17], v[129:130]
	v_add_f64 v[129:130], v[157:158], -v[165:166]
	v_add_f64 v[141:142], v[161:162], v[185:186]
	v_add_f64 v[107:108], v[10:11], v[159:160]
	;; [unrolled: 1-line block ×3, first 2 shown]
	v_add_f64 v[145:146], v[169:170], -v[161:162]
	v_add_f64 v[147:148], v[179:180], -v[185:186]
	v_add_f64 v[123:124], v[123:124], v[125:126]
	v_add_f64 v[4:5], v[4:5], v[179:180]
	;; [unrolled: 1-line block ×3, first 2 shown]
	v_fma_f64 v[129:130], v[141:142], -0.5, v[155:156]
	v_add_f64 v[2:3], v[107:108], v[167:168]
	v_fma_f64 v[10:11], v[143:144], -0.5, v[10:11]
	v_add_f64 v[141:142], v[167:168], -v[159:160]
	v_add_f64 v[143:144], v[177:178], -v[175:176]
	v_add_f64 v[107:108], v[157:158], v[183:184]
	v_add_f64 v[99:100], v[99:100], v[181:182]
	;; [unrolled: 1-line block ×3, first 2 shown]
	v_fma_f64 v[149:150], v[127:128], s[8:9], v[129:130]
	v_add_f64 v[2:3], v[2:3], v[177:178]
	v_fma_f64 v[151:152], v[131:132], s[14:15], v[10:11]
	v_add_f64 v[155:156], v[165:166], -v[173:174]
	v_add_f64 v[141:142], v[141:142], v[143:144]
	v_add_f64 v[143:144], v[145:146], v[147:148]
	v_fma_f64 v[107:108], v[107:108], -0.5, v[6:7]
	v_add_f64 v[6:7], v[101:102], v[133:134]
	v_fma_f64 v[145:146], v[111:112], s[18:19], v[149:150]
	v_add_f64 v[2:3], v[2:3], v[175:176]
	v_fma_f64 v[147:148], v[117:118], s[16:17], v[151:152]
	v_fma_f64 v[139:140], v[121:122], s[20:21], v[0:1]
	v_add_f64 v[137:138], v[8:9], -v[181:182]
	v_add_f64 v[8:9], v[163:164], -v[8:9]
	;; [unrolled: 1-line block ×4, first 2 shown]
	v_fma_f64 v[145:146], v[143:144], s[20:21], v[145:146]
	v_add_f64 v[4:5], v[99:100], v[2:3]
	v_add_f64 v[0:1], v[99:100], -v[2:3]
	v_add_f64 v[2:3], v[101:102], -v[133:134]
	;; [unrolled: 1-line block ×3, first 2 shown]
	v_fma_f64 v[147:148], v[141:142], s[20:21], v[147:148]
	v_fma_f64 v[157:158], v[155:156], s[14:15], v[115:116]
	v_add_f64 v[149:150], v[8:9], v[149:150]
	v_mul_f64 v[167:168], v[145:146], s[8:9]
	v_fma_f64 v[129:130], v[127:128], s[14:15], v[129:130]
	v_fma_f64 v[109:110], v[111:112], s[8:9], v[109:110]
	;; [unrolled: 1-line block ×3, first 2 shown]
	v_mul_f64 v[99:100], v[139:140], s[16:17]
	v_mul_f64 v[169:170], v[147:148], s[14:15]
	v_fma_f64 v[8:9], v[133:134], s[16:17], v[157:158]
	v_fma_f64 v[157:158], v[131:132], s[8:9], v[10:11]
	;; [unrolled: 1-line block ×6, first 2 shown]
	v_mul_f64 v[101:102], v[103:104], s[18:19]
	v_fma_f64 v[153:154], v[133:134], s[8:9], v[113:114]
	v_fma_f64 v[159:160], v[137:138], s[14:15], v[135:136]
	;; [unrolled: 1-line block ×3, first 2 shown]
	v_add_f64 v[161:162], v[163:164], -v[171:172]
	v_fma_f64 v[129:130], v[131:132], s[18:19], v[167:168]
	v_fma_f64 v[115:116], v[155:156], s[8:9], v[115:116]
	;; [unrolled: 1-line block ×12, first 2 shown]
	v_add_f64 v[153:154], v[173:174], -v[183:184]
	v_fma_f64 v[159:160], v[161:162], s[8:9], v[107:108]
	v_fma_f64 v[107:108], v[161:162], s[14:15], v[107:108]
	;; [unrolled: 1-line block ×3, first 2 shown]
	v_mul_f64 v[121:122], v[117:118], s[20:21]
	v_mul_f64 v[129:130], v[111:112], s[20:21]
	v_fma_f64 v[113:114], v[155:156], s[18:19], v[113:114]
	v_fma_f64 v[127:128], v[161:162], s[16:17], v[127:128]
	v_mul_f64 v[131:132], v[119:120], s[22:23]
	v_mul_f64 v[133:134], v[109:110], s[22:23]
	v_add_f64 v[151:152], v[151:152], v[153:154]
	v_fma_f64 v[107:108], v[137:138], s[16:17], v[107:108]
	v_fma_f64 v[153:154], v[137:138], s[18:19], v[159:160]
	v_fma_f64 v[163:164], v[123:124], s[20:21], v[99:100]
	v_fma_f64 v[165:166], v[125:126], s[20:21], v[101:102]
	v_fma_f64 v[115:116], v[149:150], s[20:21], v[115:116]
	v_fma_f64 v[121:122], v[111:112], s[8:9], -v[121:122]
	v_fma_f64 v[117:118], v[117:118], s[14:15], -v[129:130]
	v_fma_f64 v[123:124], v[123:124], s[20:21], v[113:114]
	v_fma_f64 v[125:126], v[125:126], s[20:21], v[127:128]
	v_fma_f64 v[127:128], v[109:110], s[16:17], -v[131:132]
	v_fma_f64 v[129:130], v[119:120], s[18:19], -v[133:134]
	v_fma_f64 v[135:136], v[151:152], s[20:21], v[107:108]
	v_fma_f64 v[145:146], v[145:146], s[20:21], v[169:170]
	v_fma_f64 v[159:160], v[149:150], s[20:21], v[8:9]
	v_fma_f64 v[153:154], v[151:152], s[20:21], v[153:154]
	v_add_f64 v[99:100], v[163:164], v[103:104]
	v_add_f64 v[101:102], v[165:166], v[139:140]
	;; [unrolled: 1-line block ×3, first 2 shown]
	v_add_f64 v[115:116], v[115:116], -v[121:122]
	v_add_f64 v[119:120], v[123:124], v[127:128]
	v_add_f64 v[121:122], v[125:126], v[129:130]
	v_add_f64 v[123:124], v[123:124], -v[127:128]
	v_add_f64 v[125:126], v[125:126], -v[129:130]
	ds_read_b128 v[127:130], v90 offset:1440
	ds_read_b128 v[131:134], v90 offset:2880
	v_add_f64 v[113:114], v[135:136], v[117:118]
	v_add_f64 v[117:118], v[135:136], -v[117:118]
	v_add3_u32 v135, 0, v97, v98
	v_add_f64 v[8:9], v[163:164], -v[103:104]
	v_add_f64 v[103:104], v[159:160], v[147:148]
	v_add_f64 v[105:106], v[153:154], v[145:146]
	s_waitcnt lgkmcnt(0)
	s_barrier
	ds_write_b128 v135, v[4:7]
	ds_write_b128 v135, v[99:102] offset:480
	v_add_f64 v[4:5], v[127:128], v[54:55]
	v_add_f64 v[10:11], v[165:166], -v[139:140]
	v_add_f64 v[6:7], v[129:130], v[56:57]
	ds_write_b128 v135, v[103:106] offset:960
	ds_write_b128 v135, v[111:114] offset:1440
	;; [unrolled: 1-line block ×4, first 2 shown]
	v_add_f64 v[107:108], v[159:160], -v[147:148]
	v_add_f64 v[109:110], v[153:154], -v[145:146]
	ds_write_b128 v135, v[8:11] offset:2880
	ds_write_b128 v135, v[107:110] offset:3360
	;; [unrolled: 1-line block ×4, first 2 shown]
	v_add_f64 v[0:1], v[4:5], v[58:59]
	v_add_f64 v[2:3], v[6:7], v[60:61]
	v_add_f64 v[8:9], v[82:83], v[86:87]
	v_add_f64 v[99:100], v[70:71], v[78:79]
	v_add_f64 v[109:110], v[68:69], -v[84:85]
	v_add_f64 v[10:11], v[58:59], v[62:63]
	v_add_f64 v[101:102], v[56:57], v[72:73]
	v_add_f64 v[115:116], v[78:79], -v[88:89]
	v_add_f64 v[0:1], v[0:1], v[62:63]
	v_add_f64 v[2:3], v[2:3], v[66:67]
	v_fma_f64 v[107:108], v[8:9], -0.5, v[70:71]
	v_add_f64 v[6:7], v[99:100], v[82:83]
	v_add_f64 v[99:100], v[60:61], v[66:67]
	v_add_f64 v[8:9], v[88:89], -v[86:87]
	v_add_f64 v[117:118], v[74:75], -v[80:81]
	v_fma_f64 v[111:112], v[10:11], -0.5, v[127:128]
	v_add_f64 v[103:104], v[0:1], v[76:77]
	v_add_f64 v[0:1], v[74:75], v[80:81]
	;; [unrolled: 1-line block ×3, first 2 shown]
	v_add_f64 v[2:3], v[78:79], -v[82:83]
	v_fma_f64 v[99:100], v[99:100], -0.5, v[129:130]
	v_add_f64 v[10:11], v[68:69], -v[74:75]
	v_add_f64 v[119:120], v[84:85], -v[80:81]
	;; [unrolled: 1-line block ×3, first 2 shown]
	v_fma_f64 v[101:102], v[101:102], -0.5, v[129:130]
	v_fma_f64 v[113:114], v[0:1], -0.5, v[64:65]
	v_fma_f64 v[0:1], v[109:110], s[14:15], v[107:108]
	v_add_f64 v[121:122], v[2:3], v[8:9]
	v_add_f64 v[129:130], v[56:57], -v[60:61]
	v_add_f64 v[135:136], v[72:73], -v[66:67]
	v_add_f64 v[139:140], v[78:79], v[88:89]
	v_add_f64 v[97:98], v[64:65], v[68:69]
	;; [unrolled: 1-line block ×3, first 2 shown]
	v_fma_f64 v[2:3], v[115:116], s[8:9], v[113:114]
	v_fma_f64 v[8:9], v[117:118], s[18:19], v[0:1]
	v_add_f64 v[6:7], v[6:7], v[86:87]
	v_add_f64 v[137:138], v[56:57], -v[72:73]
	v_add_f64 v[129:130], v[129:130], v[135:136]
	v_add_f64 v[135:136], v[68:69], v[84:85]
	v_fma_f64 v[70:71], v[139:140], -0.5, v[70:71]
	v_add_f64 v[4:5], v[97:98], v[74:75]
	v_fma_f64 v[10:11], v[123:124], s[16:17], v[2:3]
	v_fma_f64 v[8:9], v[121:122], s[20:21], v[8:9]
	v_add_f64 v[97:98], v[54:55], v[76:77]
	v_add_f64 v[78:79], v[82:83], -v[78:79]
	v_add_f64 v[82:83], v[86:87], -v[88:89]
	v_fma_f64 v[64:65], v[135:136], -0.5, v[64:65]
	v_fma_f64 v[86:87], v[117:118], s[8:9], v[70:71]
	v_add_f64 v[4:5], v[4:5], v[80:81]
	v_fma_f64 v[10:11], v[119:120], s[20:21], v[10:11]
	v_mul_f64 v[141:142], v[8:9], s[16:17]
	v_fma_f64 v[97:98], v[97:98], -0.5, v[127:128]
	v_add_f64 v[125:126], v[54:55], -v[58:59]
	v_add_f64 v[127:128], v[76:77], -v[62:63]
	v_fma_f64 v[143:144], v[137:138], s[8:9], v[111:112]
	v_add_f64 v[139:140], v[60:61], -v[66:67]
	v_add_f64 v[68:69], v[74:75], -v[68:69]
	;; [unrolled: 1-line block ×3, first 2 shown]
	v_fma_f64 v[141:142], v[10:11], s[22:23], v[141:142]
	v_mul_f64 v[10:11], v[10:11], s[18:19]
	v_fma_f64 v[80:81], v[123:124], s[14:15], v[64:65]
	v_add_f64 v[78:79], v[78:79], v[82:83]
	v_fma_f64 v[82:83], v[109:110], s[18:19], v[86:87]
	v_add_f64 v[6:7], v[6:7], v[88:89]
	v_add_f64 v[125:126], v[125:126], v[127:128]
	v_add_f64 v[127:128], v[54:55], -v[76:77]
	v_fma_f64 v[88:89], v[139:140], s[16:17], v[143:144]
	v_fma_f64 v[86:87], v[8:9], s[22:23], v[10:11]
	v_add_f64 v[68:69], v[68:69], v[74:75]
	v_fma_f64 v[10:11], v[115:116], s[16:17], v[80:81]
	v_fma_f64 v[80:81], v[78:79], s[20:21], v[82:83]
	v_add_f64 v[4:5], v[4:5], v[84:85]
	v_add_f64 v[147:148], v[58:59], -v[62:63]
	v_fma_f64 v[145:146], v[127:128], s[14:15], v[99:100]
	v_fma_f64 v[84:85], v[125:126], s[20:21], v[88:89]
	v_add_f64 v[58:59], v[58:59], -v[54:55]
	v_add_f64 v[62:63], v[62:63], -v[76:77]
	;; [unrolled: 1-line block ×4, first 2 shown]
	v_fma_f64 v[66:67], v[68:69], s[20:21], v[10:11]
	v_fma_f64 v[72:73], v[139:140], s[14:15], v[97:98]
	v_mul_f64 v[76:77], v[80:81], s[8:9]
	v_fma_f64 v[64:65], v[123:124], s[8:9], v[64:65]
	v_fma_f64 v[135:136], v[147:148], s[18:19], v[145:146]
	v_add_f64 v[8:9], v[84:85], v[141:142]
	v_add_f64 v[54:55], v[84:85], -v[141:142]
	v_add_f64 v[62:63], v[58:59], v[62:63]
	v_add_f64 v[84:85], v[56:57], v[60:61]
	v_fma_f64 v[56:57], v[137:138], s[16:17], v[72:73]
	v_fma_f64 v[72:73], v[66:67], s[20:21], v[76:77]
	v_mul_f64 v[58:59], v[66:67], s[14:15]
	v_fma_f64 v[66:67], v[117:118], s[14:15], v[70:71]
	v_fma_f64 v[64:65], v[115:116], s[18:19], v[64:65]
	v_fma_f64 v[70:71], v[115:116], s[14:15], v[113:114]
	v_fma_f64 v[76:77], v[109:110], s[8:9], v[107:108]
	v_fma_f64 v[74:75], v[129:130], s[20:21], v[135:136]
	v_fma_f64 v[82:83], v[147:148], s[8:9], v[101:102]
	v_fma_f64 v[88:89], v[127:128], s[8:9], v[99:100]
	v_add_f64 v[0:1], v[103:104], v[4:5]
	v_fma_f64 v[66:67], v[109:110], s[16:17], v[66:67]
	v_fma_f64 v[64:65], v[68:69], s[20:21], v[64:65]
	;; [unrolled: 1-line block ×4, first 2 shown]
	v_add_f64 v[10:11], v[74:75], v[86:87]
	v_fma_f64 v[60:61], v[127:128], s[18:19], v[82:83]
	v_fma_f64 v[82:83], v[62:63], s[20:21], v[56:57]
	v_add_f64 v[56:57], v[74:75], -v[86:87]
	v_fma_f64 v[76:77], v[139:140], s[8:9], v[97:98]
	v_fma_f64 v[86:87], v[147:148], s[14:15], v[101:102]
	;; [unrolled: 1-line block ×6, first 2 shown]
	v_mul_f64 v[97:98], v[64:65], s[20:21]
	v_add_f64 v[4:5], v[103:104], -v[4:5]
	v_fma_f64 v[76:77], v[137:138], s[18:19], v[76:77]
	v_fma_f64 v[86:87], v[127:128], s[16:17], v[86:87]
	v_mul_f64 v[99:100], v[66:67], s[20:21]
	v_fma_f64 v[78:79], v[139:140], s[18:19], v[78:79]
	v_fma_f64 v[88:89], v[147:148], s[16:17], v[88:89]
	v_mul_f64 v[101:102], v[68:69], s[22:23]
	v_mul_f64 v[103:104], v[70:71], s[22:23]
	v_fma_f64 v[74:75], v[80:81], s[20:21], v[58:59]
	v_fma_f64 v[80:81], v[84:85], s[20:21], v[60:61]
	;; [unrolled: 1-line block ×4, first 2 shown]
	v_fma_f64 v[86:87], v[66:67], s[8:9], -v[97:98]
	v_fma_f64 v[97:98], v[64:65], s[14:15], -v[99:100]
	v_fma_f64 v[78:79], v[125:126], s[20:21], v[78:79]
	v_fma_f64 v[88:89], v[129:130], s[20:21], v[88:89]
	v_fma_f64 v[99:100], v[70:71], s[16:17], -v[101:102]
	v_fma_f64 v[101:102], v[68:69], s[18:19], -v[103:104]
	v_add_f64 v[2:3], v[105:106], v[6:7]
	v_add_f64 v[58:59], v[82:83], v[72:73]
	;; [unrolled: 1-line block ×5, first 2 shown]
	v_add_f64 v[64:65], v[80:81], -v[74:75]
	v_add_f64 v[70:71], v[76:77], -v[86:87]
	v_add_f64 v[74:75], v[78:79], v[99:100]
	v_add_f64 v[76:77], v[88:89], v[101:102]
	v_add_f64 v[6:7], v[105:106], -v[6:7]
	v_add_f64 v[62:63], v[82:83], -v[72:73]
	v_lshlrev_b32_sdwa v82, v93, v95 dst_sel:DWORD dst_unused:UNUSED_PAD src0_sel:DWORD src1_sel:BYTE_0
	v_mul_u32_u24_e32 v83, 0x12c0, v94
	v_add3_u32 v82, 0, v83, v82
	ds_write_b128 v82, v[0:3]
	ds_write_b128 v82, v[8:11] offset:480
	ds_write_b128 v82, v[58:61] offset:960
	;; [unrolled: 1-line block ×5, first 2 shown]
	v_add_f64 v[0:1], v[131:132], v[14:15]
	v_add_f64 v[2:3], v[18:19], v[22:23]
	;; [unrolled: 1-line block ×5, first 2 shown]
	ds_write_b128 v82, v[54:57] offset:2880
	ds_write_b128 v82, v[62:65] offset:3360
	v_add_f64 v[58:59], v[34:35], v[42:43]
	v_add_f64 v[72:73], v[84:85], -v[97:98]
	v_add_f64 v[0:1], v[0:1], v[18:19]
	v_fma_f64 v[54:55], v[2:3], -0.5, v[131:132]
	v_fma_f64 v[56:57], v[4:5], -0.5, v[131:132]
	v_add_f64 v[2:3], v[6:7], v[16:17]
	v_add_f64 v[4:5], v[8:9], v[34:35]
	;; [unrolled: 1-line block ×4, first 2 shown]
	v_add_f64 v[66:67], v[30:31], -v[52:53]
	v_add_f64 v[0:1], v[0:1], v[22:23]
	v_fma_f64 v[58:59], v[58:59], -0.5, v[24:25]
	v_add_f64 v[68:69], v[28:29], -v[50:51]
	v_add_f64 v[2:3], v[2:3], v[20:21]
	v_add_f64 v[78:79], v[78:79], -v[99:100]
	v_fma_f64 v[64:65], v[8:9], -0.5, v[26:27]
	v_add_f64 v[80:81], v[88:89], -v[101:102]
	v_add_f64 v[93:94], v[28:29], v[50:51]
	ds_write_b128 v82, v[70:73] offset:3840
	ds_write_b128 v82, v[78:81] offset:4320
	v_add_f64 v[6:7], v[10:11], v[32:33]
	v_add_f64 v[10:11], v[16:17], v[20:21]
	;; [unrolled: 1-line block ×5, first 2 shown]
	v_add_f64 v[0:1], v[30:31], -v[34:35]
	v_add_f64 v[2:3], v[52:53], -v[42:43]
	;; [unrolled: 1-line block ×4, first 2 shown]
	v_fma_f64 v[74:75], v[66:67], s[14:15], v[64:65]
	v_add_f64 v[76:77], v[34:35], -v[42:43]
	v_fma_f64 v[78:79], v[68:69], s[8:9], v[58:59]
	v_add_f64 v[80:81], v[32:33], -v[40:41]
	v_add_f64 v[97:98], v[30:31], v[52:53]
	v_fma_f64 v[26:27], v[93:94], -0.5, v[26:27]
	v_add_f64 v[6:7], v[6:7], v[40:41]
	v_add_f64 v[4:5], v[4:5], v[52:53]
	v_fma_f64 v[82:83], v[10:11], -0.5, v[133:134]
	v_add_f64 v[84:85], v[0:1], v[2:3]
	v_add_f64 v[70:71], v[70:71], v[72:73]
	v_fma_f64 v[10:11], v[76:77], s[18:19], v[74:75]
	v_fma_f64 v[72:73], v[80:81], s[16:17], v[78:79]
	v_add_f64 v[74:75], v[14:15], -v[18:19]
	v_add_f64 v[78:79], v[38:39], -v[22:23]
	;; [unrolled: 1-line block ×4, first 2 shown]
	v_fma_f64 v[24:25], v[97:98], -0.5, v[24:25]
	v_add_f64 v[28:29], v[32:33], -v[28:29]
	v_add_f64 v[32:33], v[40:41], -v[50:51]
	v_fma_f64 v[40:41], v[76:77], s[8:9], v[26:27]
	v_add_f64 v[60:61], v[12:13], v[36:37]
	v_add_f64 v[6:7], v[6:7], v[50:51]
	;; [unrolled: 1-line block ×3, first 2 shown]
	v_fma_f64 v[10:11], v[70:71], s[20:21], v[10:11]
	v_fma_f64 v[72:73], v[84:85], s[20:21], v[72:73]
	v_add_f64 v[4:5], v[62:63], -v[4:5]
	v_add_f64 v[62:63], v[74:75], v[78:79]
	v_add_f64 v[74:75], v[86:87], v[88:89]
	v_add_f64 v[86:87], v[12:13], -v[36:37]
	v_add_f64 v[88:89], v[14:15], -v[38:39]
	;; [unrolled: 1-line block ×4, first 2 shown]
	v_fma_f64 v[42:43], v[80:81], s[14:15], v[24:25]
	v_add_f64 v[28:29], v[28:29], v[32:33]
	v_fma_f64 v[32:33], v[66:67], s[18:19], v[40:41]
	v_fma_f64 v[60:61], v[60:61], -0.5, v[133:134]
	v_add_f64 v[2:3], v[8:9], v[6:7]
	v_add_f64 v[6:7], v[8:9], -v[6:7]
	v_mul_f64 v[8:9], v[10:11], s[16:17]
	v_mul_f64 v[78:79], v[72:73], s[18:19]
	v_fma_f64 v[50:51], v[86:87], s[8:9], v[54:55]
	v_add_f64 v[52:53], v[16:17], -v[20:21]
	v_fma_f64 v[93:94], v[88:89], s[14:15], v[82:83]
	v_add_f64 v[97:98], v[18:19], -v[22:23]
	v_add_f64 v[30:31], v[30:31], v[34:35]
	v_fma_f64 v[34:35], v[68:69], s[16:17], v[42:43]
	v_add_f64 v[14:15], v[18:19], -v[14:15]
	v_add_f64 v[18:19], v[22:23], -v[38:39]
	v_fma_f64 v[22:23], v[28:29], s[20:21], v[32:33]
	v_fma_f64 v[40:41], v[72:73], s[22:23], v[8:9]
	v_fma_f64 v[42:43], v[10:11], s[22:23], v[78:79]
	v_fma_f64 v[8:9], v[52:53], s[16:17], v[50:51]
	v_fma_f64 v[10:11], v[97:98], s[18:19], v[93:94]
	v_fma_f64 v[32:33], v[30:31], s[20:21], v[34:35]
	v_add_f64 v[12:13], v[16:17], -v[12:13]
	v_add_f64 v[16:17], v[20:21], -v[36:37]
	v_fma_f64 v[20:21], v[52:53], s[14:15], v[56:57]
	v_fma_f64 v[34:35], v[97:98], s[8:9], v[60:61]
	v_mul_f64 v[50:51], v[22:23], s[8:9]
	v_fma_f64 v[36:37], v[62:63], s[20:21], v[8:9]
	v_fma_f64 v[38:39], v[74:75], s[20:21], v[10:11]
	v_add_f64 v[78:79], v[14:15], v[18:19]
	v_fma_f64 v[18:19], v[76:77], s[14:15], v[26:27]
	v_add_f64 v[93:94], v[12:13], v[16:17]
	v_fma_f64 v[12:13], v[86:87], s[16:17], v[20:21]
	v_fma_f64 v[14:15], v[88:89], s[18:19], v[34:35]
	;; [unrolled: 1-line block ×3, first 2 shown]
	v_mul_f64 v[72:73], v[32:33], s[14:15]
	v_fma_f64 v[20:21], v[32:33], s[20:21], v[50:51]
	v_fma_f64 v[32:33], v[68:69], s[14:15], v[58:59]
	;; [unrolled: 1-line block ×3, first 2 shown]
	v_add_f64 v[8:9], v[36:37], v[40:41]
	v_add_f64 v[10:11], v[38:39], v[42:43]
	v_fma_f64 v[24:25], v[78:79], s[20:21], v[12:13]
	v_fma_f64 v[26:27], v[93:94], s[20:21], v[14:15]
	v_add_f64 v[12:13], v[36:37], -v[40:41]
	v_add_f64 v[14:15], v[38:39], -v[42:43]
	v_fma_f64 v[36:37], v[68:69], s[18:19], v[16:17]
	v_fma_f64 v[38:39], v[66:67], s[16:17], v[18:19]
	;; [unrolled: 1-line block ×7, first 2 shown]
	v_add_f64 v[16:17], v[24:25], v[20:21]
	v_fma_f64 v[30:31], v[30:31], s[20:21], v[36:37]
	v_fma_f64 v[28:29], v[28:29], s[20:21], v[38:39]
	;; [unrolled: 1-line block ×8, first 2 shown]
	v_mul_f64 v[50:51], v[30:31], s[20:21]
	v_mul_f64 v[54:55], v[28:29], s[20:21]
	v_fma_f64 v[36:37], v[52:53], s[18:19], v[36:37]
	v_fma_f64 v[38:39], v[97:98], s[16:17], v[38:39]
	v_mul_f64 v[52:53], v[32:33], s[22:23]
	v_mul_f64 v[56:57], v[34:35], s[22:23]
	v_fma_f64 v[40:41], v[78:79], s[20:21], v[40:41]
	v_fma_f64 v[42:43], v[93:94], s[20:21], v[42:43]
	v_fma_f64 v[28:29], v[28:29], s[8:9], -v[50:51]
	v_fma_f64 v[30:31], v[30:31], s[14:15], -v[54:55]
	v_fma_f64 v[36:37], v[62:63], s[20:21], v[36:37]
	v_fma_f64 v[38:39], v[74:75], s[20:21], v[38:39]
	v_fma_f64 v[50:51], v[34:35], s[16:17], -v[52:53]
	v_fma_f64 v[52:53], v[32:33], s[18:19], -v[56:57]
	v_add_f64 v[18:19], v[26:27], v[22:23]
	v_add_f64 v[20:21], v[24:25], -v[20:21]
	v_add_f64 v[22:23], v[26:27], -v[22:23]
	v_add_f64 v[24:25], v[40:41], v[28:29]
	v_add_f64 v[26:27], v[42:43], v[30:31]
	v_add_f64 v[28:29], v[40:41], -v[28:29]
	v_add_f64 v[32:33], v[36:37], v[50:51]
	v_add_f64 v[34:35], v[38:39], v[52:53]
	v_mul_u32_u24_e32 v40, 0x12c0, v92
	v_lshlrev_b32_e32 v41, 4, v96
	v_add_f64 v[36:37], v[36:37], -v[50:51]
	v_add3_u32 v40, 0, v40, v41
	v_lshlrev_b32_e32 v50, 1, v44
	v_mov_b32_e32 v51, 0
	v_add_f64 v[30:31], v[42:43], -v[30:31]
	v_add_f64 v[38:39], v[38:39], -v[52:53]
	ds_write_b128 v40, v[0:3]
	ds_write_b128 v40, v[8:11] offset:480
	ds_write_b128 v40, v[16:19] offset:960
	;; [unrolled: 1-line block ×9, first 2 shown]
	v_lshlrev_b64 v[0:1], 4, v[50:51]
	v_mov_b32_e32 v52, s13
	v_add_co_u32_e32 v57, vcc, s12, v0
	v_addc_co_u32_e32 v58, vcc, v52, v1, vcc
	v_add_co_u32_e32 v0, vcc, s25, v57
	v_addc_co_u32_e32 v1, vcc, 0, v58, vcc
	s_movk_i32 s8, 0x1290
	v_add_co_u32_e32 v2, vcc, s8, v57
	s_waitcnt lgkmcnt(0)
	s_barrier
	v_addc_co_u32_e32 v3, vcc, 0, v58, vcc
	global_load_dwordx4 v[12:15], v[0:1], off offset:656
	global_load_dwordx4 v[20:23], v[2:3], off offset:16
	v_lshlrev_b32_e32 v0, 1, v45
	v_mov_b32_e32 v1, v51
	v_lshlrev_b64 v[0:1], 4, v[0:1]
	v_add_u32_e32 v56, 0x10e, v44
	v_add_co_u32_e32 v45, vcc, s12, v0
	v_addc_co_u32_e32 v53, vcc, v52, v1, vcc
	v_add_co_u32_e32 v8, vcc, s8, v45
	v_addc_co_u32_e32 v9, vcc, 0, v53, vcc
	;; [unrolled: 2-line block ×3, first 2 shown]
	global_load_dwordx4 v[0:3], v[10:11], off offset:656
	global_load_dwordx4 v[4:7], v[8:9], off offset:16
	v_lshlrev_b32_e32 v8, 1, v91
	v_mov_b32_e32 v9, v51
	v_lshlrev_b64 v[8:9], 4, v[8:9]
	v_add_co_u32_e32 v54, vcc, s12, v8
	v_addc_co_u32_e32 v55, vcc, v52, v9, vcc
	v_add_co_u32_e32 v24, vcc, s8, v54
	v_addc_co_u32_e32 v25, vcc, 0, v55, vcc
	;; [unrolled: 2-line block ×3, first 2 shown]
	global_load_dwordx4 v[8:11], v[26:27], off offset:656
	global_load_dwordx4 v[16:19], v[24:25], off offset:16
	v_subrev_u32_e32 v24, 30, v44
	v_cmp_gt_u32_e32 vcc, 30, v44
	v_cndmask_b32_e32 v59, v24, v56, vcc
	v_lshlrev_b32_e32 v24, 1, v59
	v_mov_b32_e32 v25, v51
	v_lshlrev_b64 v[24:25], 4, v[24:25]
	v_add_co_u32_e32 v26, vcc, s12, v24
	v_addc_co_u32_e32 v27, vcc, v52, v25, vcc
	v_add_co_u32_e32 v24, vcc, s8, v26
	v_addc_co_u32_e32 v25, vcc, 0, v27, vcc
	v_add_co_u32_e32 v26, vcc, s25, v26
	v_addc_co_u32_e32 v27, vcc, 0, v27, vcc
	global_load_dwordx4 v[28:31], v[26:27], off offset:656
	global_load_dwordx4 v[32:35], v[24:25], off offset:16
	v_add_u32_e32 v24, 0x78, v50
	v_mov_b32_e32 v25, v51
	v_lshlrev_b64 v[24:25], 4, v[24:25]
	v_add_co_u32_e32 v26, vcc, s12, v24
	v_addc_co_u32_e32 v27, vcc, v52, v25, vcc
	v_add_co_u32_e32 v24, vcc, s25, v26
	v_addc_co_u32_e32 v25, vcc, 0, v27, vcc
	;; [unrolled: 2-line block ×3, first 2 shown]
	global_load_dwordx4 v[40:43], v[24:25], off offset:656
	global_load_dwordx4 v[36:39], v[26:27], off offset:16
	v_add_u32_e32 v24, 0x12c, v50
	v_mov_b32_e32 v25, v51
	v_lshlrev_b64 v[24:25], 4, v[24:25]
	ds_read_b128 v[60:63], v90 offset:14400
	v_add_co_u32_e32 v80, vcc, s12, v24
	v_addc_co_u32_e32 v81, vcc, v52, v25, vcc
	ds_read_b128 v[64:67], v90 offset:28800
	ds_read_b128 v[24:27], v90 offset:12960
	s_waitcnt vmcnt(9) lgkmcnt(2)
	v_mul_f64 v[72:73], v[62:63], v[14:15]
	v_mul_f64 v[14:15], v[60:61], v[14:15]
	v_add_co_u32_e32 v88, vcc, s25, v80
	s_waitcnt vmcnt(8) lgkmcnt(1)
	v_mul_f64 v[76:77], v[66:67], v[22:23]
	v_mul_f64 v[22:23], v[64:65], v[22:23]
	v_addc_co_u32_e32 v89, vcc, 0, v81, vcc
	v_fma_f64 v[127:128], v[60:61], v[12:13], -v[72:73]
	v_fma_f64 v[129:130], v[62:63], v[12:13], v[14:15]
	v_add_co_u32_e32 v12, vcc, s8, v80
	v_fma_f64 v[131:132], v[64:65], v[20:21], -v[76:77]
	v_fma_f64 v[65:66], v[66:67], v[20:21], v[22:23]
	v_add_u32_e32 v20, 0x21c, v44
	ds_read_b128 v[68:71], v90 offset:27360
	ds_read_b128 v[72:75], v90 offset:15840
	;; [unrolled: 1-line block ×4, first 2 shown]
	v_addc_co_u32_e32 v13, vcc, 0, v81, vcc
	global_load_dwordx4 v[80:83], v[88:89], off offset:656
	global_load_dwordx4 v[84:87], v[12:13], off offset:16
	v_lshrrev_b16_e32 v12, 2, v20
	v_mul_u32_u24_e32 v12, 0x6d3b, v12
	v_lshrrev_b32_e32 v15, 21, v12
	v_mul_lo_u16_e32 v12, 0x12c, v15
	v_sub_u16_e32 v60, v20, v12
	v_lshlrev_b32_e32 v12, 5, v60
	v_add_co_u32_e32 v14, vcc, s12, v12
	v_addc_co_u32_e32 v22, vcc, 0, v52, vcc
	v_add_co_u32_e32 v12, vcc, s25, v14
	v_addc_co_u32_e32 v13, vcc, 0, v22, vcc
	;; [unrolled: 2-line block ×3, first 2 shown]
	global_load_dwordx4 v[91:94], v[12:13], off offset:656
	global_load_dwordx4 v[95:98], v[21:22], off offset:16
	v_add_u32_e32 v21, 0x276, v44
	v_lshrrev_b16_e32 v12, 2, v21
	v_mul_u32_u24_e32 v12, 0x6d3b, v12
	v_lshrrev_b32_e32 v12, 21, v12
	v_mul_lo_u16_e32 v12, 0x12c, v12
	v_sub_u16_e32 v14, v21, v12
	v_lshlrev_b32_e32 v12, 5, v14
	v_add_co_u32_e32 v22, vcc, s12, v12
	v_addc_co_u32_e32 v23, vcc, 0, v52, vcc
	v_add_co_u32_e32 v12, vcc, s25, v22
	v_addc_co_u32_e32 v13, vcc, 0, v23, vcc
	;; [unrolled: 2-line block ×3, first 2 shown]
	global_load_dwordx4 v[99:102], v[12:13], off offset:656
	global_load_dwordx4 v[103:106], v[22:23], off offset:16
	v_add_u32_e32 v22, 0x2d0, v44
	v_lshrrev_b16_e32 v12, 2, v22
	v_mul_u32_u24_e32 v12, 0x6d3b, v12
	v_lshrrev_b32_e32 v12, 21, v12
	v_mul_lo_u16_e32 v12, 0x12c, v12
	v_sub_u16_e32 v12, v22, v12
	v_lshlrev_b32_e32 v13, 5, v12
	v_add_co_u32_e32 v13, vcc, s12, v13
	v_addc_co_u32_e32 v23, vcc, 0, v52, vcc
	v_add_co_u32_e32 v88, vcc, s25, v13
	v_addc_co_u32_e32 v89, vcc, 0, v23, vcc
	;; [unrolled: 2-line block ×3, first 2 shown]
	v_add_u32_e32 v23, 0x32a, v44
	v_lshrrev_b16_e32 v13, 2, v23
	v_mul_u32_u24_e32 v13, 0x6d3b, v13
	v_lshrrev_b32_e32 v13, 21, v13
	global_load_dwordx4 v[107:110], v[88:89], off offset:656
	global_load_dwordx4 v[111:114], v[115:116], off offset:16
	v_mul_lo_u16_e32 v13, 0x12c, v13
	v_sub_u16_e32 v13, v23, v13
	v_lshlrev_b32_e32 v67, 5, v13
	v_add_co_u32_e32 v67, vcc, s12, v67
	v_addc_co_u32_e32 v119, vcc, 0, v52, vcc
	v_add_co_u32_e32 v88, vcc, s25, v67
	v_addc_co_u32_e32 v89, vcc, 0, v119, vcc
	global_load_dwordx4 v[115:118], v[88:89], off offset:656
	v_add_co_u32_e32 v88, vcc, s8, v67
	v_addc_co_u32_e32 v89, vcc, 0, v119, vcc
	global_load_dwordx4 v[119:122], v[88:89], off offset:16
	s_waitcnt vmcnt(17) lgkmcnt(2)
	v_mul_f64 v[133:134], v[74:75], v[2:3]
	v_mul_f64 v[2:3], v[72:73], v[2:3]
	ds_read_b128 v[123:126], v90 offset:31680
	s_waitcnt vmcnt(16) lgkmcnt(2)
	v_mul_f64 v[88:89], v[63:64], v[6:7]
	v_mul_f64 v[6:7], v[61:62], v[6:7]
	s_waitcnt vmcnt(15) lgkmcnt(1)
	v_mul_f64 v[135:136], v[78:79], v[10:11]
	v_mul_f64 v[10:11], v[76:77], v[10:11]
	v_cmp_lt_u32_e32 vcc, 29, v44
	v_fma_f64 v[72:73], v[72:73], v[0:1], -v[133:134]
	v_fma_f64 v[74:75], v[74:75], v[0:1], v[2:3]
	ds_read_b128 v[0:3], v90 offset:18720
	s_waitcnt vmcnt(14) lgkmcnt(1)
	v_mul_f64 v[133:134], v[125:126], v[18:19]
	v_mul_f64 v[18:19], v[123:124], v[18:19]
	v_fma_f64 v[61:62], v[61:62], v[4:5], -v[88:89]
	v_fma_f64 v[63:64], v[63:64], v[4:5], v[6:7]
	v_fma_f64 v[76:77], v[76:77], v[8:9], -v[135:136]
	v_fma_f64 v[78:79], v[78:79], v[8:9], v[10:11]
	ds_read_b128 v[4:7], v90 offset:33120
	ds_read_b128 v[8:11], v90 offset:20160
	v_lshl_add_u32 v12, v12, 4, 0
	v_fma_f64 v[88:89], v[123:124], v[16:17], -v[133:134]
	v_fma_f64 v[123:124], v[125:126], v[16:17], v[18:19]
	s_waitcnt vmcnt(13) lgkmcnt(2)
	v_mul_f64 v[125:126], v[2:3], v[30:31]
	v_mul_f64 v[30:31], v[0:1], v[30:31]
	ds_read_b128 v[16:19], v90 offset:34560
	s_waitcnt vmcnt(12) lgkmcnt(2)
	v_mul_f64 v[133:134], v[6:7], v[34:35]
	v_mul_f64 v[34:35], v[4:5], v[34:35]
	s_waitcnt vmcnt(11) lgkmcnt(1)
	v_mul_f64 v[135:136], v[10:11], v[42:43]
	v_mul_f64 v[42:43], v[8:9], v[42:43]
	s_movk_i32 s8, 0x3810
	v_fma_f64 v[125:126], v[0:1], v[28:29], -v[125:126]
	v_fma_f64 v[139:140], v[2:3], v[28:29], v[30:31]
	ds_read_b128 v[0:3], v90 offset:21600
	s_waitcnt vmcnt(10) lgkmcnt(1)
	v_mul_f64 v[137:138], v[18:19], v[38:39]
	v_fma_f64 v[133:134], v[4:5], v[32:33], -v[133:134]
	v_fma_f64 v[141:142], v[6:7], v[32:33], v[34:35]
	v_fma_f64 v[135:136], v[8:9], v[40:41], -v[135:136]
	v_fma_f64 v[143:144], v[10:11], v[40:41], v[42:43]
	ds_read_b128 v[4:7], v90 offset:36000
	ds_read_b128 v[8:11], v90 offset:23040
	v_mul_f64 v[38:39], v[16:17], v[38:39]
	s_waitcnt vmcnt(9) lgkmcnt(2)
	v_mul_f64 v[32:33], v[0:1], v[82:83]
	v_fma_f64 v[137:138], v[16:17], v[36:37], -v[137:138]
	v_mul_f64 v[16:17], v[2:3], v[82:83]
	ds_read_b128 v[28:31], v90 offset:37440
	s_waitcnt vmcnt(8) lgkmcnt(2)
	v_mul_f64 v[34:35], v[6:7], v[86:87]
	v_mul_f64 v[40:41], v[4:5], v[86:87]
	s_waitcnt vmcnt(7) lgkmcnt(1)
	v_mul_f64 v[42:43], v[10:11], v[93:94]
	v_mul_f64 v[82:83], v[8:9], v[93:94]
	v_fma_f64 v[149:150], v[2:3], v[80:81], v[32:33]
	v_fma_f64 v[145:146], v[18:19], v[36:37], v[38:39]
	v_fma_f64 v[147:148], v[0:1], v[80:81], -v[16:17]
	ds_read_b128 v[0:3], v90 offset:24480
	s_waitcnt vmcnt(6) lgkmcnt(1)
	v_mul_f64 v[16:17], v[30:31], v[97:98]
	v_fma_f64 v[151:152], v[4:5], v[84:85], -v[34:35]
	v_fma_f64 v[153:154], v[6:7], v[84:85], v[40:41]
	v_fma_f64 v[155:156], v[8:9], v[91:92], -v[42:43]
	v_fma_f64 v[157:158], v[10:11], v[91:92], v[82:83]
	ds_read_b128 v[4:7], v90 offset:38880
	ds_read_b128 v[8:11], v90 offset:25920
	v_mul_f64 v[32:33], v[28:29], v[97:98]
	s_waitcnt vmcnt(5) lgkmcnt(2)
	v_mul_f64 v[34:35], v[0:1], v[101:102]
	v_fma_f64 v[159:160], v[28:29], v[95:96], -v[16:17]
	v_mul_f64 v[28:29], v[2:3], v[101:102]
	s_waitcnt vmcnt(4) lgkmcnt(1)
	v_mul_f64 v[36:37], v[6:7], v[105:106]
	ds_read_b128 v[16:19], v90 offset:40320
	s_waitcnt vmcnt(3) lgkmcnt(1)
	v_mul_f64 v[38:39], v[8:9], v[109:110]
	v_add_f64 v[83:84], v[139:140], -v[141:142]
	v_fma_f64 v[101:102], v[30:31], v[95:96], v[32:33]
	v_mul_f64 v[32:33], v[10:11], v[109:110]
	v_mul_f64 v[30:31], v[4:5], v[105:106]
	v_fma_f64 v[105:106], v[0:1], v[99:100], -v[28:29]
	v_fma_f64 v[99:100], v[2:3], v[99:100], v[34:35]
	ds_read_b128 v[0:3], v90 offset:41760
	s_waitcnt vmcnt(2) lgkmcnt(1)
	v_mul_f64 v[28:29], v[18:19], v[113:114]
	v_fma_f64 v[109:110], v[4:5], v[103:104], -v[36:37]
	v_mul_f64 v[4:5], v[16:17], v[113:114]
	v_fma_f64 v[113:114], v[8:9], v[107:108], -v[32:33]
	v_fma_f64 v[107:108], v[10:11], v[107:108], v[38:39]
	s_waitcnt vmcnt(1)
	v_mul_f64 v[8:9], v[70:71], v[117:118]
	v_mul_f64 v[10:11], v[68:69], v[117:118]
	v_fma_f64 v[103:104], v[6:7], v[103:104], v[30:31]
	v_fma_f64 v[161:162], v[16:17], v[111:112], -v[28:29]
	s_waitcnt vmcnt(0) lgkmcnt(0)
	v_mul_f64 v[16:17], v[2:3], v[121:122]
	v_fma_f64 v[111:112], v[18:19], v[111:112], v[4:5]
	ds_read_b128 v[4:7], v90
	v_add_f64 v[18:19], v[127:128], v[131:132]
	v_fma_f64 v[117:118], v[68:69], v[115:116], -v[8:9]
	v_mul_f64 v[8:9], v[0:1], v[121:122]
	v_add_f64 v[28:29], v[129:130], v[65:66]
	v_fma_f64 v[115:116], v[70:71], v[115:116], v[10:11]
	s_waitcnt lgkmcnt(0)
	v_add_f64 v[10:11], v[6:7], v[129:130]
	v_add_f64 v[30:31], v[4:5], v[127:128]
	v_fma_f64 v[121:122], v[0:1], v[119:120], -v[16:17]
	v_fma_f64 v[16:17], v[18:19], -0.5, v[4:5]
	v_add_f64 v[36:37], v[74:75], v[63:64]
	v_fma_f64 v[119:120], v[2:3], v[119:120], v[8:9]
	v_fma_f64 v[32:33], v[28:29], -0.5, v[6:7]
	ds_read_b128 v[4:7], v90 offset:1440
	v_add_f64 v[2:3], v[10:11], v[65:66]
	v_add_f64 v[10:11], v[72:73], v[61:62]
	;; [unrolled: 1-line block ×3, first 2 shown]
	ds_read_b128 v[28:31], v90 offset:2880
	s_waitcnt lgkmcnt(1)
	v_add_f64 v[38:39], v[6:7], v[74:75]
	v_add_f64 v[40:41], v[4:5], v[72:73]
	v_add_f64 v[18:19], v[129:130], -v[65:66]
	v_add_f64 v[34:35], v[127:128], -v[131:132]
	;; [unrolled: 1-line block ×3, first 2 shown]
	v_fma_f64 v[42:43], v[10:11], -0.5, v[4:5]
	v_fma_f64 v[67:68], v[36:37], -0.5, v[6:7]
	v_add_f64 v[69:70], v[72:73], -v[61:62]
	v_add_f64 v[6:7], v[38:39], v[63:64]
	v_add_f64 v[4:5], v[40:41], v[61:62]
	;; [unrolled: 1-line block ×3, first 2 shown]
	s_waitcnt lgkmcnt(0)
	v_add_f64 v[63:64], v[28:29], v[76:77]
	v_fma_f64 v[8:9], v[18:19], s[4:5], v[16:17]
	v_fma_f64 v[16:17], v[18:19], s[6:7], v[16:17]
	;; [unrolled: 1-line block ×5, first 2 shown]
	v_add_f64 v[61:62], v[78:79], v[123:124]
	v_fma_f64 v[36:37], v[65:66], s[6:7], v[42:43]
	v_add_f64 v[42:43], v[30:31], v[78:79]
	v_fma_f64 v[34:35], v[69:70], s[6:7], v[67:68]
	v_fma_f64 v[38:39], v[69:70], s[4:5], v[67:68]
	v_fma_f64 v[69:70], v[40:41], -0.5, v[28:29]
	v_add_f64 v[71:72], v[78:79], -v[123:124]
	v_add_f64 v[78:79], v[125:126], v[133:134]
	v_add_f64 v[28:29], v[63:64], v[88:89]
	;; [unrolled: 1-line block ×3, first 2 shown]
	v_fma_f64 v[73:74], v[61:62], -0.5, v[30:31]
	v_add_f64 v[30:31], v[42:43], v[123:124]
	ds_read_b128 v[40:43], v90 offset:4320
	ds_read_b128 v[65:68], v90 offset:5760
	v_add_f64 v[75:76], v[76:77], -v[88:89]
	v_add_f64 v[87:88], v[125:126], -v[133:134]
	v_fma_f64 v[61:62], v[71:72], s[4:5], v[69:70]
	s_waitcnt lgkmcnt(1)
	v_fma_f64 v[77:78], v[78:79], -0.5, v[40:41]
	v_add_f64 v[79:80], v[42:43], v[139:140]
	v_add_f64 v[81:82], v[40:41], v[125:126]
	v_fma_f64 v[85:86], v[63:64], -0.5, v[42:43]
	v_fma_f64 v[40:41], v[71:72], s[6:7], v[69:70]
	v_fma_f64 v[63:64], v[75:76], s[6:7], v[73:74]
	;; [unrolled: 1-line block ×4, first 2 shown]
	v_add_f64 v[71:72], v[79:80], v[141:142]
	v_add_f64 v[69:70], v[81:82], v[133:134]
	v_fma_f64 v[77:78], v[83:84], s[6:7], v[77:78]
	v_fma_f64 v[75:76], v[87:88], s[6:7], v[85:86]
	;; [unrolled: 1-line block ×3, first 2 shown]
	ds_read_b128 v[81:84], v90 offset:7200
	ds_read_b128 v[85:88], v90 offset:8640
	;; [unrolled: 1-line block ×4, first 2 shown]
	s_waitcnt lgkmcnt(0)
	s_barrier
	ds_write_b128 v90, v[0:3]
	ds_write_b128 v90, v[8:11] offset:4800
	ds_write_b128 v90, v[16:19] offset:9600
	;; [unrolled: 1-line block ×8, first 2 shown]
	v_mov_b32_e32 v2, 0x3840
	v_add_f64 v[0:1], v[135:136], v[137:138]
	v_cndmask_b32_e32 v2, 0, v2, vcc
	v_lshlrev_b32_e32 v3, 4, v59
	v_add3_u32 v10, 0, v2, v3
	v_add_f64 v[2:3], v[143:144], v[145:146]
	v_add_f64 v[4:5], v[67:68], v[143:144]
	;; [unrolled: 1-line block ×4, first 2 shown]
	v_fma_f64 v[6:7], v[0:1], -0.5, v[65:66]
	v_add_f64 v[0:1], v[65:66], v[135:136]
	ds_write_b128 v10, v[69:72]
	v_add_f64 v[8:9], v[143:144], -v[145:146]
	ds_write_b128 v10, v[73:76] offset:4800
	ds_write_b128 v10, v[77:80] offset:9600
	v_fma_f64 v[10:11], v[2:3], -0.5, v[67:68]
	v_add_f64 v[16:17], v[135:136], -v[137:138]
	v_add_f64 v[2:3], v[4:5], v[145:146]
	v_add_f64 v[28:29], v[149:150], v[153:154]
	v_add_f64 v[0:1], v[0:1], v[137:138]
	v_fma_f64 v[34:35], v[18:19], -0.5, v[81:82]
	v_add_f64 v[38:39], v[155:156], v[159:160]
	v_add_f64 v[18:19], v[30:31], v[153:154]
	;; [unrolled: 1-line block ×3, first 2 shown]
	v_fma_f64 v[4:5], v[8:9], s[4:5], v[6:7]
	v_fma_f64 v[8:9], v[8:9], s[6:7], v[6:7]
	;; [unrolled: 1-line block ×3, first 2 shown]
	v_add_f64 v[32:33], v[81:82], v[147:148]
	v_add_f64 v[36:37], v[149:150], -v[153:154]
	v_fma_f64 v[10:11], v[16:17], s[4:5], v[10:11]
	v_fma_f64 v[40:41], v[28:29], -0.5, v[83:84]
	v_add_f64 v[42:43], v[147:148], -v[151:152]
	v_fma_f64 v[61:62], v[38:39], -0.5, v[85:86]
	v_add_f64 v[38:39], v[87:88], v[157:158]
	v_add_f64 v[63:64], v[85:86], v[155:156]
	v_add_f64 v[65:66], v[157:158], -v[101:102]
	v_fma_f64 v[67:68], v[30:31], -0.5, v[87:88]
	v_add_f64 v[69:70], v[155:156], -v[159:160]
	ds_write_b128 v90, v[0:3] offset:15360
	ds_write_b128 v90, v[4:7] offset:20160
	v_add_f64 v[0:1], v[105:106], v[109:110]
	v_add_f64 v[2:3], v[99:100], v[103:104]
	;; [unrolled: 1-line block ×3, first 2 shown]
	v_fma_f64 v[28:29], v[36:37], s[4:5], v[34:35]
	v_fma_f64 v[32:33], v[36:37], s[6:7], v[34:35]
	;; [unrolled: 1-line block ×4, first 2 shown]
	v_add_f64 v[38:39], v[38:39], v[101:102]
	v_add_f64 v[36:37], v[63:64], v[159:160]
	v_fma_f64 v[40:41], v[65:66], s[4:5], v[61:62]
	v_fma_f64 v[61:62], v[65:66], s[6:7], v[61:62]
	;; [unrolled: 1-line block ×3, first 2 shown]
	ds_write_b128 v90, v[8:11] offset:24960
	ds_write_b128 v90, v[16:19] offset:16800
	v_mul_u32_u24_e32 v6, 0x3840, v15
	v_fma_f64 v[8:9], v[0:1], -0.5, v[91:92]
	v_add_f64 v[0:1], v[93:94], v[99:100]
	v_add_f64 v[4:5], v[91:92], v[105:106]
	v_fma_f64 v[10:11], v[2:3], -0.5, v[93:94]
	v_add_f64 v[15:16], v[99:100], -v[103:104]
	v_add_f64 v[17:18], v[105:106], -v[109:110]
	v_fma_f64 v[42:43], v[69:70], s[6:7], v[67:68]
	v_lshlrev_b32_e32 v7, 4, v60
	v_add3_u32 v6, 0, v6, v7
	ds_write_b128 v90, v[28:31] offset:21600
	ds_write_b128 v90, v[32:35] offset:26400
	ds_write_b128 v6, v[36:39]
	ds_write_b128 v6, v[40:43] offset:4800
	v_add_f64 v[2:3], v[0:1], v[103:104]
	v_add_f64 v[0:1], v[4:5], v[109:110]
	ds_write_b128 v6, v[61:64] offset:9600
	v_fma_f64 v[4:5], v[15:16], s[4:5], v[8:9]
	v_fma_f64 v[6:7], v[17:18], s[6:7], v[10:11]
	v_fma_f64 v[8:9], v[15:16], s[6:7], v[8:9]
	v_add_f64 v[15:16], v[113:114], v[161:162]
	v_fma_f64 v[10:11], v[17:18], s[4:5], v[10:11]
	v_lshl_add_u32 v18, v14, 4, 0
	ds_write_b128 v18, v[0:3] offset:28800
	v_add_f64 v[0:1], v[107:108], v[111:112]
	v_add_f64 v[2:3], v[97:98], v[107:108]
	ds_write_b128 v18, v[4:7] offset:33600
	v_add_f64 v[4:5], v[95:96], v[113:114]
	v_fma_f64 v[6:7], v[15:16], -0.5, v[95:96]
	v_add_f64 v[16:17], v[117:118], v[121:122]
	ds_write_b128 v18, v[8:11] offset:38400
	v_add_f64 v[8:9], v[115:116], v[119:120]
	v_add_f64 v[14:15], v[107:108], -v[111:112]
	v_fma_f64 v[10:11], v[0:1], -0.5, v[97:98]
	v_add_f64 v[18:19], v[113:114], -v[161:162]
	v_add_f64 v[30:31], v[115:116], -v[119:120]
	;; [unrolled: 1-line block ×3, first 2 shown]
	v_fma_f64 v[28:29], v[16:17], -0.5, v[24:25]
	v_add_f64 v[16:17], v[26:27], v[115:116]
	v_add_f64 v[24:25], v[24:25], v[117:118]
	v_fma_f64 v[32:33], v[8:9], -0.5, v[26:27]
	v_add_f64 v[2:3], v[2:3], v[111:112]
	v_add_f64 v[0:1], v[4:5], v[161:162]
	v_fma_f64 v[4:5], v[14:15], s[4:5], v[6:7]
	v_fma_f64 v[8:9], v[14:15], s[6:7], v[6:7]
	;; [unrolled: 1-line block ×3, first 2 shown]
	v_add_f64 v[16:17], v[16:17], v[119:120]
	v_add_f64 v[14:15], v[24:25], v[121:122]
	v_fma_f64 v[10:11], v[18:19], s[4:5], v[10:11]
	v_fma_f64 v[24:25], v[30:31], s[4:5], v[28:29]
	;; [unrolled: 1-line block ×5, first 2 shown]
	ds_write_b128 v12, v[0:3] offset:28800
	ds_write_b128 v12, v[4:7] offset:33600
	;; [unrolled: 1-line block ×3, first 2 shown]
	v_lshl_add_u32 v0, v13, 4, 0
	ds_write_b128 v0, v[14:17] offset:28800
	ds_write_b128 v0, v[24:27] offset:33600
	;; [unrolled: 1-line block ×3, first 2 shown]
	v_add_co_u32_e32 v0, vcc, s24, v57
	v_addc_co_u32_e32 v1, vcc, 0, v58, vcc
	s_waitcnt lgkmcnt(0)
	s_barrier
	global_load_dwordx4 v[12:15], v[0:1], off offset:2064
	v_add_co_u32_e32 v0, vcc, s8, v57
	v_addc_co_u32_e32 v1, vcc, 0, v58, vcc
	global_load_dwordx4 v[0:3], v[0:1], off offset:16
	v_add_co_u32_e32 v4, vcc, s24, v45
	v_addc_co_u32_e32 v5, vcc, 0, v53, vcc
	global_load_dwordx4 v[4:7], v[4:5], off offset:2064
	ds_read_b128 v[16:19], v90 offset:14400
	ds_read_b128 v[8:11], v90 offset:28800
	;; [unrolled: 1-line block ×4, first 2 shown]
	s_waitcnt vmcnt(2) lgkmcnt(3)
	v_mul_f64 v[32:33], v[18:19], v[14:15]
	v_mul_f64 v[14:15], v[16:17], v[14:15]
	s_waitcnt vmcnt(1) lgkmcnt(2)
	v_mul_f64 v[34:35], v[10:11], v[2:3]
	v_mul_f64 v[2:3], v[8:9], v[2:3]
	v_fma_f64 v[111:112], v[16:17], v[12:13], -v[32:33]
	v_fma_f64 v[113:114], v[18:19], v[12:13], v[14:15]
	ds_read_b128 v[12:15], v90 offset:15840
	v_fma_f64 v[115:116], v[8:9], v[0:1], -v[34:35]
	ds_read_b128 v[32:35], v90 offset:17280
	v_add_co_u32_e32 v8, vcc, s8, v45
	v_addc_co_u32_e32 v9, vcc, 0, v53, vcc
	v_add_co_u32_e32 v40, vcc, s8, v54
	v_addc_co_u32_e32 v41, vcc, 0, v55, vcc
	v_add_co_u32_e32 v42, vcc, s24, v54
	v_addc_co_u32_e32 v43, vcc, 0, v55, vcc
	global_load_dwordx4 v[16:19], v[8:9], off offset:16
	s_waitcnt vmcnt(1) lgkmcnt(1)
	v_mul_f64 v[117:118], v[14:15], v[6:7]
	v_mul_f64 v[119:120], v[12:13], v[6:7]
	global_load_dwordx4 v[6:9], v[42:43], off offset:2064
	global_load_dwordx4 v[36:39], v[40:41], off offset:16
	v_lshlrev_b32_e32 v40, 1, v56
	v_mov_b32_e32 v41, v51
	v_lshlrev_b64 v[40:41], 4, v[40:41]
	v_fma_f64 v[123:124], v[10:11], v[0:1], v[2:3]
	v_add_co_u32_e32 v40, vcc, s12, v40
	v_addc_co_u32_e32 v41, vcc, v52, v41, vcc
	v_add_co_u32_e32 v57, vcc, s8, v40
	v_addc_co_u32_e32 v58, vcc, 0, v41, vcc
	;; [unrolled: 2-line block ×3, first 2 shown]
	global_load_dwordx4 v[40:43], v[59:60], off offset:2064
	global_load_dwordx4 v[53:56], v[57:58], off offset:16
	v_add_u32_e32 v57, 0x2d0, v50
	v_mov_b32_e32 v58, v51
	v_lshlrev_b64 v[57:58], 4, v[57:58]
	v_add_u32_e32 v50, 0x384, v50
	v_add_co_u32_e32 v45, vcc, s12, v57
	v_addc_co_u32_e32 v57, vcc, v52, v58, vcc
	v_add_co_u32_e32 v65, vcc, s8, v45
	v_addc_co_u32_e32 v66, vcc, 0, v57, vcc
	v_add_co_u32_e32 v67, vcc, s24, v45
	v_addc_co_u32_e32 v68, vcc, 0, v57, vcc
	global_load_dwordx4 v[57:60], v[67:68], off offset:2064
	global_load_dwordx4 v[61:64], v[65:66], off offset:16
	v_lshlrev_b64 v[65:66], 4, v[50:51]
	v_fma_f64 v[117:118], v[12:13], v[4:5], -v[117:118]
	v_add_co_u32_e32 v45, vcc, s12, v65
	v_addc_co_u32_e32 v50, vcc, v52, v66, vcc
	v_add_co_u32_e32 v73, vcc, s8, v45
	v_addc_co_u32_e32 v74, vcc, 0, v50, vcc
	;; [unrolled: 2-line block ×3, first 2 shown]
	v_lshlrev_b32_e32 v50, 1, v20
	global_load_dwordx4 v[65:68], v[75:76], off offset:2064
	global_load_dwordx4 v[69:72], v[73:74], off offset:16
	v_lshlrev_b64 v[73:74], 4, v[50:51]
	v_lshlrev_b32_e32 v50, 1, v21
	v_add_co_u32_e32 v20, vcc, s12, v73
	v_addc_co_u32_e32 v45, vcc, v52, v74, vcc
	v_add_co_u32_e32 v81, vcc, s8, v20
	v_addc_co_u32_e32 v82, vcc, 0, v45, vcc
	v_add_co_u32_e32 v83, vcc, s24, v20
	v_lshlrev_b64 v[20:21], 4, v[50:51]
	v_addc_co_u32_e32 v84, vcc, 0, v45, vcc
	global_load_dwordx4 v[73:76], v[83:84], off offset:2064
	global_load_dwordx4 v[77:80], v[81:82], off offset:16
	v_add_co_u32_e32 v45, vcc, s12, v20
	v_addc_co_u32_e32 v50, vcc, v52, v21, vcc
	v_add_co_u32_e32 v20, vcc, s8, v45
	v_addc_co_u32_e32 v21, vcc, 0, v50, vcc
	;; [unrolled: 2-line block ×3, first 2 shown]
	v_lshlrev_b32_e32 v50, 1, v22
	global_load_dwordx4 v[81:84], v[91:92], off offset:2064
	global_load_dwordx4 v[85:88], v[20:21], off offset:16
	v_lshlrev_b64 v[20:21], 4, v[50:51]
	v_lshlrev_b32_e32 v50, 1, v23
	v_add_co_u32_e32 v22, vcc, s12, v20
	v_addc_co_u32_e32 v45, vcc, v52, v21, vcc
	v_add_co_u32_e32 v20, vcc, s8, v22
	v_addc_co_u32_e32 v21, vcc, 0, v45, vcc
	;; [unrolled: 2-line block ×3, first 2 shown]
	global_load_dwordx4 v[91:94], v[99:100], off offset:2064
	global_load_dwordx4 v[95:98], v[20:21], off offset:16
	v_lshlrev_b64 v[20:21], 4, v[50:51]
	ds_read_b128 v[99:102], v90 offset:30240
	ds_read_b128 v[107:110], v90 offset:31680
	v_add_co_u32_e32 v45, vcc, s12, v20
	v_addc_co_u32_e32 v50, vcc, v52, v21, vcc
	v_add_co_u32_e32 v20, vcc, s24, v45
	v_addc_co_u32_e32 v21, vcc, 0, v50, vcc
	global_load_dwordx4 v[20:23], v[20:21], off offset:2064
	v_add_co_u32_e32 v103, vcc, s8, v45
	v_addc_co_u32_e32 v104, vcc, 0, v50, vcc
	global_load_dwordx4 v[103:106], v[103:104], off offset:16
	s_waitcnt vmcnt(16) lgkmcnt(1)
	v_mul_f64 v[121:122], v[101:102], v[18:19]
	v_mul_f64 v[10:11], v[99:100], v[18:19]
	s_waitcnt vmcnt(15)
	v_mul_f64 v[12:13], v[34:35], v[8:9]
	v_mul_f64 v[8:9], v[32:33], v[8:9]
	ds_read_b128 v[0:3], v90 offset:18720
	s_waitcnt vmcnt(14) lgkmcnt(1)
	v_mul_f64 v[18:19], v[109:110], v[38:39]
	v_fma_f64 v[119:120], v[14:15], v[4:5], v[119:120]
	v_mul_f64 v[14:15], v[107:108], v[38:39]
	v_fma_f64 v[99:100], v[99:100], v[16:17], -v[121:122]
	v_fma_f64 v[38:39], v[101:102], v[16:17], v[10:11]
	v_fma_f64 v[32:33], v[32:33], v[6:7], -v[12:13]
	v_fma_f64 v[34:35], v[34:35], v[6:7], v[8:9]
	ds_read_b128 v[4:7], v90 offset:20160
	s_waitcnt vmcnt(13) lgkmcnt(1)
	v_mul_f64 v[16:17], v[2:3], v[42:43]
	ds_read_b128 v[8:11], v90 offset:33120
	v_fma_f64 v[101:102], v[107:108], v[36:37], -v[18:19]
	v_fma_f64 v[36:37], v[109:110], v[36:37], v[14:15]
	ds_read_b128 v[12:15], v90 offset:34560
	v_mul_f64 v[18:19], v[0:1], v[42:43]
	s_waitcnt vmcnt(12) lgkmcnt(1)
	v_mul_f64 v[42:43], v[10:11], v[55:56]
	v_mul_f64 v[55:56], v[8:9], v[55:56]
	s_waitcnt vmcnt(11)
	v_mul_f64 v[107:108], v[6:7], v[59:60]
	v_fma_f64 v[109:110], v[0:1], v[40:41], -v[16:17]
	v_mul_f64 v[16:17], v[4:5], v[59:60]
	s_waitcnt vmcnt(10) lgkmcnt(0)
	v_mul_f64 v[59:60], v[14:15], v[63:64]
	v_mul_f64 v[63:64], v[12:13], v[63:64]
	v_fma_f64 v[121:122], v[2:3], v[40:41], v[18:19]
	ds_read_b128 v[0:3], v90 offset:21600
	v_fma_f64 v[125:126], v[8:9], v[53:54], -v[42:43]
	v_fma_f64 v[127:128], v[10:11], v[53:54], v[55:56]
	v_fma_f64 v[107:108], v[4:5], v[57:58], -v[107:108]
	v_fma_f64 v[129:130], v[6:7], v[57:58], v[16:17]
	ds_read_b128 v[4:7], v90 offset:23040
	ds_read_b128 v[8:11], v90 offset:36000
	s_waitcnt vmcnt(9) lgkmcnt(2)
	v_mul_f64 v[40:41], v[2:3], v[67:68]
	v_fma_f64 v[131:132], v[12:13], v[61:62], -v[59:60]
	v_mul_f64 v[12:13], v[0:1], v[67:68]
	ds_read_b128 v[16:19], v90 offset:37440
	s_waitcnt vmcnt(8) lgkmcnt(1)
	v_mul_f64 v[42:43], v[10:11], v[71:72]
	v_mul_f64 v[52:53], v[8:9], v[71:72]
	s_waitcnt vmcnt(7)
	v_mul_f64 v[54:55], v[6:7], v[75:76]
	v_fma_f64 v[67:68], v[14:15], v[61:62], v[63:64]
	v_mul_f64 v[14:15], v[4:5], v[75:76]
	v_fma_f64 v[133:134], v[0:1], v[65:66], -v[40:41]
	v_fma_f64 v[75:76], v[2:3], v[65:66], v[12:13]
	ds_read_b128 v[0:3], v90 offset:24480
	s_waitcnt vmcnt(6) lgkmcnt(1)
	v_mul_f64 v[40:41], v[18:19], v[79:80]
	v_fma_f64 v[135:136], v[8:9], v[69:70], -v[42:43]
	v_fma_f64 v[137:138], v[10:11], v[69:70], v[52:53]
	v_fma_f64 v[139:140], v[4:5], v[73:74], -v[54:55]
	v_fma_f64 v[141:142], v[6:7], v[73:74], v[14:15]
	ds_read_b128 v[4:7], v90 offset:25920
	ds_read_b128 v[8:11], v90 offset:38880
	v_mul_f64 v[42:43], v[16:17], v[79:80]
	s_waitcnt vmcnt(5) lgkmcnt(2)
	v_mul_f64 v[52:53], v[2:3], v[83:84]
	v_mul_f64 v[54:55], v[0:1], v[83:84]
	v_fma_f64 v[143:144], v[16:17], v[77:78], -v[40:41]
	s_waitcnt vmcnt(4) lgkmcnt(0)
	v_mul_f64 v[40:41], v[8:9], v[87:88]
	ds_read_b128 v[12:15], v90 offset:40320
	v_mul_f64 v[16:17], v[10:11], v[87:88]
	v_add_f64 v[60:61], v[32:33], -v[101:102]
	v_fma_f64 v[88:89], v[18:19], v[77:78], v[42:43]
	v_fma_f64 v[145:146], v[0:1], v[81:82], -v[52:53]
	v_fma_f64 v[147:148], v[2:3], v[81:82], v[54:55]
	ds_read_b128 v[0:3], v90 offset:41760
	s_waitcnt vmcnt(2) lgkmcnt(1)
	v_mul_f64 v[42:43], v[14:15], v[97:98]
	v_fma_f64 v[151:152], v[10:11], v[85:86], v[40:41]
	v_mul_f64 v[56:57], v[6:7], v[93:94]
	v_mul_f64 v[18:19], v[4:5], v[93:94]
	v_fma_f64 v[149:150], v[8:9], v[85:86], -v[16:17]
	v_mul_f64 v[8:9], v[12:13], v[97:98]
	v_add_f64 v[54:55], v[34:35], v[36:37]
	v_add_f64 v[62:63], v[121:122], v[127:128]
	v_fma_f64 v[157:158], v[12:13], v[95:96], -v[42:43]
	v_add_f64 v[42:43], v[119:120], -v[38:39]
	v_fma_f64 v[153:154], v[4:5], v[91:92], -v[56:57]
	s_waitcnt vmcnt(1)
	v_mul_f64 v[10:11], v[30:31], v[22:23]
	v_mul_f64 v[12:13], v[28:29], v[22:23]
	v_fma_f64 v[155:156], v[6:7], v[91:92], v[18:19]
	ds_read_b128 v[4:7], v90
	v_add_f64 v[18:19], v[111:112], v[115:116]
	s_waitcnt vmcnt(0) lgkmcnt(1)
	v_mul_f64 v[16:17], v[2:3], v[105:106]
	v_fma_f64 v[159:160], v[14:15], v[95:96], v[8:9]
	v_mul_f64 v[8:9], v[0:1], v[105:106]
	v_fma_f64 v[161:162], v[28:29], v[20:21], -v[10:11]
	v_add_f64 v[10:11], v[113:114], v[123:124]
	s_waitcnt lgkmcnt(0)
	v_add_f64 v[14:15], v[6:7], v[113:114]
	v_fma_f64 v[163:164], v[30:31], v[20:21], v[12:13]
	v_add_f64 v[22:23], v[111:112], -v[115:116]
	v_fma_f64 v[165:166], v[0:1], v[103:104], -v[16:17]
	v_fma_f64 v[16:17], v[18:19], -0.5, v[4:5]
	v_add_f64 v[0:1], v[4:5], v[111:112]
	v_add_f64 v[18:19], v[113:114], -v[123:124]
	v_fma_f64 v[20:21], v[10:11], -0.5, v[6:7]
	v_add_f64 v[10:11], v[117:118], v[99:100]
	ds_read_b128 v[4:7], v90 offset:1440
	v_fma_f64 v[167:168], v[2:3], v[103:104], v[8:9]
	v_add_f64 v[2:3], v[14:15], v[123:124]
	ds_read_b128 v[12:15], v90 offset:2880
	v_add_f64 v[28:29], v[119:120], v[38:39]
	s_waitcnt lgkmcnt(1)
	v_add_f64 v[30:31], v[6:7], v[119:120]
	v_fma_f64 v[8:9], v[18:19], s[4:5], v[16:17]
	v_fma_f64 v[40:41], v[10:11], -0.5, v[4:5]
	v_fma_f64 v[16:17], v[18:19], s[6:7], v[16:17]
	v_fma_f64 v[10:11], v[22:23], s[6:7], v[20:21]
	;; [unrolled: 1-line block ×3, first 2 shown]
	v_add_f64 v[56:57], v[34:35], -v[36:37]
	v_fma_f64 v[52:53], v[28:29], -0.5, v[6:7]
	v_add_f64 v[6:7], v[30:31], v[38:39]
	v_add_f64 v[38:39], v[32:33], v[101:102]
	v_fma_f64 v[20:21], v[42:43], s[4:5], v[40:41]
	v_fma_f64 v[28:29], v[42:43], s[6:7], v[40:41]
	s_waitcnt lgkmcnt(0)
	v_add_f64 v[42:43], v[12:13], v[32:33]
	v_add_f64 v[30:31], v[117:118], -v[99:100]
	v_add_f64 v[40:41], v[14:15], v[34:35]
	ds_read_b128 v[32:35], v90 offset:4320
	v_fma_f64 v[58:59], v[54:55], -0.5, v[14:15]
	v_fma_f64 v[38:39], v[38:39], -0.5, v[12:13]
	v_add_f64 v[71:72], v[121:122], -v[127:128]
	v_add_f64 v[73:74], v[109:110], -v[125:126]
	v_add_f64 v[12:13], v[42:43], v[101:102]
	v_add_f64 v[42:43], v[109:110], v[125:126]
	v_fma_f64 v[22:23], v[30:31], s[6:7], v[52:53]
	v_fma_f64 v[30:31], v[30:31], s[4:5], v[52:53]
	ds_read_b128 v[52:55], v90 offset:5760
	v_add_f64 v[14:15], v[40:41], v[36:37]
	v_fma_f64 v[36:37], v[56:57], s[4:5], v[38:39]
	v_fma_f64 v[40:41], v[56:57], s[6:7], v[38:39]
	s_waitcnt lgkmcnt(1)
	v_add_f64 v[56:57], v[34:35], v[121:122]
	v_add_f64 v[64:65], v[32:33], v[109:110]
	v_fma_f64 v[69:70], v[42:43], -0.5, v[32:33]
	v_fma_f64 v[38:39], v[60:61], s[6:7], v[58:59]
	v_fma_f64 v[62:63], v[62:63], -0.5, v[34:35]
	v_fma_f64 v[42:43], v[60:61], s[4:5], v[58:59]
	v_add_f64 v[79:80], v[133:134], v[135:136]
	v_add_f64 v[81:82], v[75:76], v[137:138]
	;; [unrolled: 1-line block ×5, first 2 shown]
	v_fma_f64 v[56:57], v[71:72], s[4:5], v[69:70]
	v_fma_f64 v[60:61], v[71:72], s[6:7], v[69:70]
	v_add_f64 v[69:70], v[129:130], v[67:68]
	s_waitcnt lgkmcnt(0)
	v_add_f64 v[71:72], v[54:55], v[129:130]
	v_fma_f64 v[58:59], v[73:74], s[6:7], v[62:63]
	v_fma_f64 v[62:63], v[73:74], s[4:5], v[62:63]
	v_add_f64 v[73:74], v[52:53], v[107:108]
	v_fma_f64 v[77:78], v[64:65], -0.5, v[52:53]
	v_add_f64 v[85:86], v[129:130], -v[67:68]
	v_add_f64 v[91:92], v[107:108], -v[131:132]
	v_fma_f64 v[83:84], v[69:70], -0.5, v[54:55]
	ds_read_b128 v[52:55], v90 offset:7200
	v_add_f64 v[66:67], v[71:72], v[67:68]
	ds_read_b128 v[68:71], v90 offset:8640
	v_add_f64 v[97:98], v[75:76], -v[137:138]
	v_add_f64 v[4:5], v[4:5], v[117:118]
	s_waitcnt lgkmcnt(1)
	v_fma_f64 v[93:94], v[79:80], -0.5, v[52:53]
	v_fma_f64 v[95:96], v[81:82], -0.5, v[54:55]
	v_add_f64 v[79:80], v[54:55], v[75:76]
	v_add_f64 v[81:82], v[52:53], v[133:134]
	;; [unrolled: 1-line block ×3, first 2 shown]
	v_fma_f64 v[52:53], v[85:86], s[4:5], v[77:78]
	v_fma_f64 v[72:73], v[85:86], s[6:7], v[77:78]
	v_add_f64 v[86:87], v[139:140], v[143:144]
	v_fma_f64 v[54:55], v[91:92], s[6:7], v[83:84]
	v_fma_f64 v[74:75], v[91:92], s[4:5], v[83:84]
	v_add_f64 v[78:79], v[79:80], v[137:138]
	v_add_f64 v[76:77], v[81:82], v[135:136]
	v_fma_f64 v[80:81], v[97:98], s[4:5], v[93:94]
	v_add_f64 v[91:92], v[141:142], v[88:89]
	v_fma_f64 v[84:85], v[97:98], s[6:7], v[93:94]
	s_waitcnt lgkmcnt(0)
	v_add_f64 v[93:94], v[70:71], v[141:142]
	v_add_f64 v[4:5], v[4:5], v[99:100]
	v_add_f64 v[99:100], v[133:134], -v[135:136]
	v_fma_f64 v[101:102], v[86:87], -0.5, v[68:69]
	v_add_f64 v[103:104], v[141:142], -v[88:89]
	v_add_f64 v[111:112], v[147:148], v[151:152]
	v_fma_f64 v[107:108], v[91:92], -0.5, v[70:71]
	v_add_f64 v[0:1], v[0:1], v[115:116]
	v_add_f64 v[70:71], v[93:94], v[88:89]
	ds_read_b128 v[91:94], v90 offset:10080
	v_fma_f64 v[82:83], v[99:100], s[6:7], v[95:96]
	v_fma_f64 v[86:87], v[99:100], s[4:5], v[95:96]
	v_add_f64 v[88:89], v[145:146], v[149:150]
	v_fma_f64 v[95:96], v[103:104], s[4:5], v[101:102]
	v_fma_f64 v[99:100], v[103:104], s[6:7], v[101:102]
	ds_read_b128 v[103:106], v90 offset:11520
	s_waitcnt lgkmcnt(1)
	v_add_f64 v[113:114], v[93:94], v[147:148]
	v_add_f64 v[97:98], v[68:69], v[139:140]
	v_add_f64 v[109:110], v[139:140], -v[143:144]
	v_add_f64 v[115:116], v[147:148], -v[151:152]
	v_fma_f64 v[88:89], v[88:89], -0.5, v[91:92]
	v_fma_f64 v[117:118], v[111:112], -0.5, v[93:94]
	v_add_f64 v[119:120], v[145:146], -v[149:150]
	s_waitcnt lgkmcnt(0)
	v_add_f64 v[121:122], v[103:104], v[153:154]
	v_add_f64 v[93:94], v[113:114], v[151:152]
	;; [unrolled: 1-line block ×4, first 2 shown]
	v_fma_f64 v[97:98], v[109:110], s[6:7], v[107:108]
	v_fma_f64 v[101:102], v[109:110], s[4:5], v[107:108]
	;; [unrolled: 1-line block ×4, first 2 shown]
	v_add_f64 v[88:89], v[155:156], v[159:160]
	v_fma_f64 v[109:110], v[119:120], s[6:7], v[117:118]
	v_fma_f64 v[123:124], v[113:114], -0.5, v[103:104]
	v_add_f64 v[127:128], v[161:162], v[165:166]
	v_fma_f64 v[113:114], v[119:120], s[4:5], v[117:118]
	v_add_f64 v[117:118], v[163:164], v[167:168]
	v_add_f64 v[91:92], v[91:92], v[145:146]
	;; [unrolled: 1-line block ×3, first 2 shown]
	v_add_f64 v[125:126], v[155:156], -v[159:160]
	v_fma_f64 v[88:89], v[88:89], -0.5, v[105:106]
	v_add_f64 v[103:104], v[121:122], v[157:158]
	v_add_f64 v[119:120], v[153:154], -v[157:158]
	v_fma_f64 v[127:128], v[127:128], -0.5, v[24:25]
	v_add_f64 v[121:122], v[26:27], v[163:164]
	v_add_f64 v[129:130], v[24:25], v[161:162]
	v_add_f64 v[131:132], v[163:164], -v[167:168]
	v_fma_f64 v[133:134], v[117:118], -0.5, v[26:27]
	v_add_f64 v[135:136], v[161:162], -v[165:166]
	v_add_f64 v[91:92], v[91:92], v[149:150]
	v_add_f64 v[105:106], v[115:116], v[159:160]
	v_fma_f64 v[115:116], v[125:126], s[4:5], v[123:124]
	v_fma_f64 v[24:25], v[125:126], s[6:7], v[123:124]
	;; [unrolled: 1-line block ×4, first 2 shown]
	v_add_f64 v[121:122], v[121:122], v[167:168]
	v_add_f64 v[119:120], v[129:130], v[165:166]
	v_fma_f64 v[123:124], v[131:132], s[4:5], v[127:128]
	v_fma_f64 v[127:128], v[131:132], s[6:7], v[127:128]
	;; [unrolled: 1-line block ×4, first 2 shown]
	s_barrier
	ds_write_b128 v90, v[0:3]
	ds_write_b128 v90, v[8:11] offset:14400
	ds_write_b128 v90, v[16:19] offset:28800
	;; [unrolled: 1-line block ×29, first 2 shown]
	s_waitcnt lgkmcnt(0)
	s_barrier
	s_and_saveexec_b64 s[4:5], s[0:1]
	s_cbranch_execz .LBB0_21
; %bb.20:
	v_mul_lo_u32 v0, s3, v48
	v_mul_lo_u32 v1, s2, v49
	v_mad_u64_u32 v[4:5], s[0:1], s2, v48, 0
	v_mov_b32_e32 v6, s11
	v_lshl_add_u32 v14, v44, 4, 0
	v_add3_u32 v5, v5, v1, v0
	v_lshlrev_b64 v[4:5], 4, v[4:5]
	v_mov_b32_e32 v45, v51
	v_add_co_u32_e32 v7, vcc, s10, v4
	v_addc_co_u32_e32 v6, vcc, v6, v5, vcc
	v_lshlrev_b64 v[4:5], 4, v[46:47]
	ds_read_b128 v[0:3], v14
	v_add_co_u32_e32 v15, vcc, v7, v4
	v_addc_co_u32_e32 v16, vcc, v6, v5, vcc
	v_lshlrev_b64 v[4:5], 4, v[44:45]
	v_add_u32_e32 v50, 0x5a, v44
	v_add_co_u32_e32 v8, vcc, v15, v4
	v_addc_co_u32_e32 v9, vcc, v16, v5, vcc
	ds_read_b128 v[4:7], v14 offset:41760
	s_waitcnt lgkmcnt(1)
	global_store_dwordx4 v[8:9], v[0:3], off
	ds_read_b128 v[0:3], v14 offset:1440
	v_lshlrev_b64 v[8:9], 4, v[50:51]
	v_add_u32_e32 v50, 0xb4, v44
	v_add_co_u32_e32 v12, vcc, v15, v8
	v_addc_co_u32_e32 v13, vcc, v16, v9, vcc
	ds_read_b128 v[8:11], v14 offset:2880
	s_waitcnt lgkmcnt(1)
	global_store_dwordx4 v[12:13], v[0:3], off
	s_nop 0
	v_lshlrev_b64 v[0:1], 4, v[50:51]
	v_add_u32_e32 v50, 0x10e, v44
	v_add_co_u32_e32 v0, vcc, v15, v0
	v_addc_co_u32_e32 v1, vcc, v16, v1, vcc
	s_waitcnt lgkmcnt(0)
	global_store_dwordx4 v[0:1], v[8:11], off
	ds_read_b128 v[0:3], v14 offset:4320
	v_lshlrev_b64 v[8:9], 4, v[50:51]
	v_add_u32_e32 v50, 0x168, v44
	v_add_co_u32_e32 v12, vcc, v15, v8
	v_addc_co_u32_e32 v13, vcc, v16, v9, vcc
	ds_read_b128 v[8:11], v14 offset:5760
	s_waitcnt lgkmcnt(1)
	global_store_dwordx4 v[12:13], v[0:3], off
	s_nop 0
	v_lshlrev_b64 v[0:1], 4, v[50:51]
	v_add_u32_e32 v50, 0x1c2, v44
	v_add_co_u32_e32 v0, vcc, v15, v0
	v_addc_co_u32_e32 v1, vcc, v16, v1, vcc
	;; [unrolled: 15-line block ×14, first 2 shown]
	s_waitcnt lgkmcnt(0)
	global_store_dwordx4 v[0:1], v[8:11], off
	v_lshlrev_b64 v[0:1], 4, v[50:51]
	v_add_co_u32_e32 v0, vcc, v15, v0
	v_addc_co_u32_e32 v1, vcc, v16, v1, vcc
	global_store_dwordx4 v[0:1], v[4:7], off
.LBB0_21:
	s_endpgm
	.section	.rodata,"a",@progbits
	.p2align	6, 0x0
	.amdhsa_kernel fft_rtc_fwd_len2700_factors_3_10_10_3_3_wgs_90_tpt_90_halfLds_dp_op_CI_CI_unitstride_sbrr_C2R_dirReg
		.amdhsa_group_segment_fixed_size 0
		.amdhsa_private_segment_fixed_size 0
		.amdhsa_kernarg_size 104
		.amdhsa_user_sgpr_count 6
		.amdhsa_user_sgpr_private_segment_buffer 1
		.amdhsa_user_sgpr_dispatch_ptr 0
		.amdhsa_user_sgpr_queue_ptr 0
		.amdhsa_user_sgpr_kernarg_segment_ptr 1
		.amdhsa_user_sgpr_dispatch_id 0
		.amdhsa_user_sgpr_flat_scratch_init 0
		.amdhsa_user_sgpr_private_segment_size 0
		.amdhsa_uses_dynamic_stack 0
		.amdhsa_system_sgpr_private_segment_wavefront_offset 0
		.amdhsa_system_sgpr_workgroup_id_x 1
		.amdhsa_system_sgpr_workgroup_id_y 0
		.amdhsa_system_sgpr_workgroup_id_z 0
		.amdhsa_system_sgpr_workgroup_info 0
		.amdhsa_system_vgpr_workitem_id 0
		.amdhsa_next_free_vgpr 231
		.amdhsa_next_free_sgpr 28
		.amdhsa_reserve_vcc 1
		.amdhsa_reserve_flat_scratch 0
		.amdhsa_float_round_mode_32 0
		.amdhsa_float_round_mode_16_64 0
		.amdhsa_float_denorm_mode_32 3
		.amdhsa_float_denorm_mode_16_64 3
		.amdhsa_dx10_clamp 1
		.amdhsa_ieee_mode 1
		.amdhsa_fp16_overflow 0
		.amdhsa_exception_fp_ieee_invalid_op 0
		.amdhsa_exception_fp_denorm_src 0
		.amdhsa_exception_fp_ieee_div_zero 0
		.amdhsa_exception_fp_ieee_overflow 0
		.amdhsa_exception_fp_ieee_underflow 0
		.amdhsa_exception_fp_ieee_inexact 0
		.amdhsa_exception_int_div_zero 0
	.end_amdhsa_kernel
	.text
.Lfunc_end0:
	.size	fft_rtc_fwd_len2700_factors_3_10_10_3_3_wgs_90_tpt_90_halfLds_dp_op_CI_CI_unitstride_sbrr_C2R_dirReg, .Lfunc_end0-fft_rtc_fwd_len2700_factors_3_10_10_3_3_wgs_90_tpt_90_halfLds_dp_op_CI_CI_unitstride_sbrr_C2R_dirReg
                                        ; -- End function
	.section	.AMDGPU.csdata,"",@progbits
; Kernel info:
; codeLenInByte = 24660
; NumSgprs: 32
; NumVgprs: 231
; ScratchSize: 0
; MemoryBound: 0
; FloatMode: 240
; IeeeMode: 1
; LDSByteSize: 0 bytes/workgroup (compile time only)
; SGPRBlocks: 3
; VGPRBlocks: 57
; NumSGPRsForWavesPerEU: 32
; NumVGPRsForWavesPerEU: 231
; Occupancy: 1
; WaveLimiterHint : 1
; COMPUTE_PGM_RSRC2:SCRATCH_EN: 0
; COMPUTE_PGM_RSRC2:USER_SGPR: 6
; COMPUTE_PGM_RSRC2:TRAP_HANDLER: 0
; COMPUTE_PGM_RSRC2:TGID_X_EN: 1
; COMPUTE_PGM_RSRC2:TGID_Y_EN: 0
; COMPUTE_PGM_RSRC2:TGID_Z_EN: 0
; COMPUTE_PGM_RSRC2:TIDIG_COMP_CNT: 0
	.type	__hip_cuid_48303546369dfa61,@object ; @__hip_cuid_48303546369dfa61
	.section	.bss,"aw",@nobits
	.globl	__hip_cuid_48303546369dfa61
__hip_cuid_48303546369dfa61:
	.byte	0                               ; 0x0
	.size	__hip_cuid_48303546369dfa61, 1

	.ident	"AMD clang version 19.0.0git (https://github.com/RadeonOpenCompute/llvm-project roc-6.4.0 25133 c7fe45cf4b819c5991fe208aaa96edf142730f1d)"
	.section	".note.GNU-stack","",@progbits
	.addrsig
	.addrsig_sym __hip_cuid_48303546369dfa61
	.amdgpu_metadata
---
amdhsa.kernels:
  - .args:
      - .actual_access:  read_only
        .address_space:  global
        .offset:         0
        .size:           8
        .value_kind:     global_buffer
      - .offset:         8
        .size:           8
        .value_kind:     by_value
      - .actual_access:  read_only
        .address_space:  global
        .offset:         16
        .size:           8
        .value_kind:     global_buffer
      - .actual_access:  read_only
        .address_space:  global
        .offset:         24
        .size:           8
        .value_kind:     global_buffer
      - .actual_access:  read_only
        .address_space:  global
        .offset:         32
        .size:           8
        .value_kind:     global_buffer
      - .offset:         40
        .size:           8
        .value_kind:     by_value
      - .actual_access:  read_only
        .address_space:  global
        .offset:         48
        .size:           8
        .value_kind:     global_buffer
      - .actual_access:  read_only
        .address_space:  global
        .offset:         56
        .size:           8
        .value_kind:     global_buffer
      - .offset:         64
        .size:           4
        .value_kind:     by_value
      - .actual_access:  read_only
        .address_space:  global
        .offset:         72
        .size:           8
        .value_kind:     global_buffer
      - .actual_access:  read_only
        .address_space:  global
        .offset:         80
        .size:           8
        .value_kind:     global_buffer
      - .actual_access:  read_only
        .address_space:  global
        .offset:         88
        .size:           8
        .value_kind:     global_buffer
      - .actual_access:  write_only
        .address_space:  global
        .offset:         96
        .size:           8
        .value_kind:     global_buffer
    .group_segment_fixed_size: 0
    .kernarg_segment_align: 8
    .kernarg_segment_size: 104
    .language:       OpenCL C
    .language_version:
      - 2
      - 0
    .max_flat_workgroup_size: 90
    .name:           fft_rtc_fwd_len2700_factors_3_10_10_3_3_wgs_90_tpt_90_halfLds_dp_op_CI_CI_unitstride_sbrr_C2R_dirReg
    .private_segment_fixed_size: 0
    .sgpr_count:     32
    .sgpr_spill_count: 0
    .symbol:         fft_rtc_fwd_len2700_factors_3_10_10_3_3_wgs_90_tpt_90_halfLds_dp_op_CI_CI_unitstride_sbrr_C2R_dirReg.kd
    .uniform_work_group_size: 1
    .uses_dynamic_stack: false
    .vgpr_count:     231
    .vgpr_spill_count: 0
    .wavefront_size: 64
amdhsa.target:   amdgcn-amd-amdhsa--gfx906
amdhsa.version:
  - 1
  - 2
...

	.end_amdgpu_metadata
